;; amdgpu-corpus repo=ROCm/rocFFT kind=compiled arch=gfx1030 opt=O3
	.text
	.amdgcn_target "amdgcn-amd-amdhsa--gfx1030"
	.amdhsa_code_object_version 6
	.protected	fft_rtc_back_len289_factors_17_17_wgs_119_tpt_17_sp_op_CI_CI_sbrc_erc_z_xy_unaligned_dirReg ; -- Begin function fft_rtc_back_len289_factors_17_17_wgs_119_tpt_17_sp_op_CI_CI_sbrc_erc_z_xy_unaligned_dirReg
	.globl	fft_rtc_back_len289_factors_17_17_wgs_119_tpt_17_sp_op_CI_CI_sbrc_erc_z_xy_unaligned_dirReg
	.p2align	8
	.type	fft_rtc_back_len289_factors_17_17_wgs_119_tpt_17_sp_op_CI_CI_sbrc_erc_z_xy_unaligned_dirReg,@function
fft_rtc_back_len289_factors_17_17_wgs_119_tpt_17_sp_op_CI_CI_sbrc_erc_z_xy_unaligned_dirReg: ; @fft_rtc_back_len289_factors_17_17_wgs_119_tpt_17_sp_op_CI_CI_sbrc_erc_z_xy_unaligned_dirReg
; %bb.0:
	s_load_dwordx8 s[8:15], s[4:5], 0x0
	v_and_b32_e32 v11, 0xffff, v0
	s_waitcnt lgkmcnt(0)
	s_load_dwordx4 s[0:3], s[12:13], 0x8
	s_waitcnt lgkmcnt(0)
	s_add_i32 s1, s0, -1
	s_mul_hi_u32 s3, s1, 0x24924925
	s_sub_i32 s1, s1, s3
	s_lshr_b32 s1, s1, 1
	s_add_i32 s1, s1, s3
	s_lshr_b32 s1, s1, 2
	s_add_i32 s3, s1, 1
	s_mul_i32 s2, s3, s2
	v_cvt_f32_u32_e32 v2, s3
	v_cvt_f32_u32_e32 v1, s2
	s_sub_i32 s12, 0, s2
	v_rcp_iflag_f32_e32 v2, v2
	v_rcp_iflag_f32_e32 v1, v1
	v_mul_f32_e32 v1, 0x4f7ffffe, v1
	v_cvt_u32_f32_e32 v1, v1
	v_readfirstlane_b32 s7, v1
	v_mul_f32_e32 v1, 0x4f7ffffe, v2
	s_mul_i32 s12, s12, s7
	v_cvt_u32_f32_e32 v1, v1
	s_mul_hi_u32 s12, s7, s12
	s_add_i32 s7, s7, s12
	v_readfirstlane_b32 s17, v1
	s_mul_hi_u32 s7, s6, s7
	s_mul_i32 s12, s7, s2
	s_add_i32 s13, s7, 1
	s_sub_i32 s12, s6, s12
	s_sub_i32 s16, s12, s2
	s_cmp_ge_u32 s12, s2
	s_cselect_b32 s7, s13, s7
	s_cselect_b32 s12, s16, s12
	s_add_i32 s13, s7, 1
	s_cmp_ge_u32 s12, s2
	s_cselect_b32 s24, s13, s7
	s_not_b32 s1, s1
	s_mul_i32 s2, s24, s2
	s_mul_i32 s1, s1, s17
	s_sub_i32 s2, s6, s2
	s_mul_hi_u32 s1, s17, s1
	s_load_dword s13, s[14:15], 0x10
	s_add_i32 s1, s17, s1
	s_load_dwordx4 s[16:19], s[14:15], 0x0
	s_mul_hi_u32 s7, s2, s1
	s_mul_hi_u32 s1, s6, s1
	s_mul_i32 s12, s7, s3
	s_mul_i32 s1, s1, s3
	s_sub_i32 s2, s2, s12
	s_add_i32 s12, s7, 1
	s_waitcnt lgkmcnt(0)
	s_sub_i32 s19, s2, s3
	s_cmp_ge_u32 s2, s3
	s_cselect_b32 s7, s12, s7
	s_cselect_b32 s2, s19, s2
	s_add_i32 s12, s7, 1
	s_cmp_ge_u32 s2, s3
	s_cselect_b32 s19, s12, s7
	s_sub_i32 s1, s6, s1
	s_sub_i32 s2, s1, s3
	s_cmp_ge_u32 s1, s3
	s_mul_i32 s6, s19, s13
	s_cselect_b32 s1, s2, s1
	s_sub_i32 s2, s1, s3
	s_cmp_ge_u32 s1, s3
	s_cselect_b32 s1, s2, s1
	s_lshl_b64 s[2:3], s[10:11], 3
	s_mul_i32 s1, s1, 7
	s_mul_i32 s7, s1, s18
	s_add_i32 s12, s7, s6
	s_add_u32 s6, s14, s2
	s_addc_u32 s7, s15, s3
	s_load_dwordx2 s[6:7], s[6:7], 0x0
	s_clause 0x1
	s_load_dwordx2 s[22:23], s[4:5], 0x20
	s_load_dwordx2 s[10:11], s[4:5], 0x58
	s_waitcnt lgkmcnt(0)
	s_mul_i32 s7, s7, s24
	s_mul_hi_u32 s13, s6, s24
	s_mul_i32 s6, s6, s24
	s_add_i32 s13, s13, s7
	s_add_u32 s20, s6, s12
	s_addc_u32 s21, s13, 0
	s_add_u32 s6, s22, s2
	s_addc_u32 s7, s23, s3
	s_clause 0x2
	s_load_dwordx4 s[12:15], s[22:23], 0x0
	s_load_dwordx2 s[2:3], s[22:23], 0x10
	s_load_dwordx2 s[6:7], s[6:7], 0x0
	s_waitcnt lgkmcnt(0)
	s_add_i32 s3, s1, 7
	s_mov_b32 s15, -1
	s_cmp_le_u32 s3, s0
	s_cselect_b32 s3, -1, 0
	s_and_b32 vcc_lo, exec_lo, s3
	s_cbranch_vccz .LBB0_2
; %bb.1:
	v_add_nc_u16 v1, v0, 0xee
	v_mov_b32_e32 v27, 0xe3
	v_add_nc_u16 v3, v0, 0x165
	v_add_nc_u16 v4, v0, 0x1dc
	;; [unrolled: 1-line block ×4, first 2 shown]
	v_mul_u32_u24_sdwa v2, v1, v27 dst_sel:DWORD dst_unused:UNUSED_PAD src0_sel:WORD_0 src1_sel:DWORD
	v_mul_u32_u24_sdwa v5, v3, v27 dst_sel:DWORD dst_unused:UNUSED_PAD src0_sel:WORD_0 src1_sel:DWORD
	;; [unrolled: 1-line block ×3, first 2 shown]
	s_lshl_b64 s[22:23], s[20:21], 3
	v_mul_u32_u24_sdwa v19, v25, v27 dst_sel:DWORD dst_unused:UNUSED_PAD src0_sel:WORD_0 src1_sel:DWORD
	v_lshrrev_b32_e32 v14, 16, v2
	v_lshrrev_b32_e32 v12, 16, v5
	v_lshrrev_b32_e32 v13, 16, v6
	v_mov_b32_e32 v2, 0
	s_add_u32 s15, s10, s22
	v_mul_lo_u16 v5, 0x121, v14
	v_mul_lo_u16 v6, 0x121, v12
	;; [unrolled: 1-line block ×3, first 2 shown]
	s_addc_u32 s22, s11, s23
	v_lshrrev_b32_e32 v19, 16, v19
	v_sub_nc_u16 v1, v1, v5
	v_sub_nc_u16 v3, v3, v6
	v_mul_u32_u24_sdwa v5, v9, v27 dst_sel:DWORD dst_unused:UNUSED_PAD src0_sel:WORD_0 src1_sel:DWORD
	v_sub_nc_u16 v4, v4, v7
	v_mul_lo_u16 v26, 0x121, v19
	v_and_b32_e32 v16, 0xffff, v1
	v_and_b32_e32 v18, 0xffff, v3
	v_lshrrev_b32_e32 v15, 16, v5
	v_and_b32_e32 v17, 0xffff, v4
	v_mul_lo_u32 v1, s18, v14
	v_mad_u64_u32 v[3:4], null, s16, v16, 0
	v_mad_u64_u32 v[5:6], null, s16, v18, 0
	;; [unrolled: 1-line block ×3, first 2 shown]
	v_mul_lo_u16 v10, 0x121, v15
	v_add_nc_u16 v29, v0, 0x341
	v_add_nc_u16 v31, v0, 0x3b8
	v_mov_b32_e32 v56, 0x717
	v_add_nc_u16 v36, v0, 0x42f
	v_sub_nc_u16 v20, v9, v10
	v_mad_u64_u32 v[9:10], null, s17, v16, v[4:5]
	v_mad_u64_u32 v[21:22], null, s17, v18, v[6:7]
	v_and_b32_e32 v20, 0xffff, v20
	v_mul_u32_u24_sdwa v30, v31, v56 dst_sel:DWORD dst_unused:UNUSED_PAD src0_sel:WORD_0 src1_sel:DWORD
	v_add_nc_u16 v37, v0, 0x4a6
	v_add_nc_u16 v42, v0, 0x51d
	v_mov_b32_e32 v4, v9
	v_mad_u64_u32 v[22:23], null, s17, v17, v[8:9]
	v_mov_b32_e32 v6, v21
	v_lshlrev_b64 v[23:24], 3, v[1:2]
	v_lshlrev_b64 v[3:4], 3, v[3:4]
	v_mul_lo_u32 v1, s18, v12
	v_add_nc_u16 v43, v0, 0x594
	v_lshlrev_b64 v[5:6], 3, v[5:6]
	v_mov_b32_e32 v8, v22
	v_add_nc_u16 v48, v0, 0x60b
	v_add_co_u32 v3, vcc_lo, s15, v3
	v_add_co_ci_u32_e32 v4, vcc_lo, s22, v4, vcc_lo
	v_add_co_u32 v5, vcc_lo, s15, v5
	v_lshlrev_b64 v[9:10], 3, v[1:2]
	v_add_co_ci_u32_e32 v6, vcc_lo, s22, v6, vcc_lo
	v_lshlrev_b64 v[21:22], 3, v[7:8]
	v_add_co_u32 v7, vcc_lo, v3, v23
	v_add_co_ci_u32_e32 v8, vcc_lo, v4, v24, vcc_lo
	v_mad_u64_u32 v[23:24], null, s16, v20, 0
	v_mul_lo_u32 v1, s18, v13
	v_add_co_u32 v3, vcc_lo, v5, v9
	v_add_co_ci_u32_e32 v4, vcc_lo, v6, v10, vcc_lo
	v_sub_nc_u16 v6, v25, v26
	v_mov_b32_e32 v5, v24
	v_add_co_u32 v28, vcc_lo, s15, v21
	v_lshlrev_b64 v[9:10], 3, v[1:2]
	v_and_b32_e32 v21, 0xffff, v6
	v_add_co_ci_u32_e32 v22, vcc_lo, s22, v22, vcc_lo
	v_mad_u64_u32 v[24:25], null, s17, v20, v[5:6]
	v_mul_u32_u24_sdwa v1, v29, v27 dst_sel:DWORD dst_unused:UNUSED_PAD src0_sel:WORD_0 src1_sel:DWORD
	v_mad_u64_u32 v[25:26], null, s16, v21, 0
	v_add_co_u32 v5, vcc_lo, v28, v9
	v_add_co_ci_u32_e32 v6, vcc_lo, v22, v10, vcc_lo
	v_lshrrev_b32_e32 v22, 16, v1
	v_mul_lo_u32 v1, s18, v15
	v_mov_b32_e32 v9, v26
	v_lshlrev_b64 v[26:27], 3, v[23:24]
	v_lshrrev_b32_e32 v23, 19, v30
	v_mul_lo_u16 v28, 0x121, v22
	v_add_nc_u16 v57, v0, 0x6f9
	v_mad_u64_u32 v[9:10], null, s17, v21, v[9:10]
	v_add_co_u32 v32, vcc_lo, s15, v26
	v_sub_nc_u16 v10, v29, v28
	v_add_co_ci_u32_e32 v33, vcc_lo, s22, v27, vcc_lo
	v_lshlrev_b64 v[27:28], 3, v[1:2]
	v_mov_b32_e32 v26, v9
	v_and_b32_e32 v24, 0xffff, v10
	v_mul_lo_u16 v10, 0x121, v23
	v_mul_lo_u32 v1, s18, v19
	v_mul_u32_u24_e32 v14, 0x910, v14
	v_add_co_u32 v9, vcc_lo, v32, v27
	v_mad_u64_u32 v[29:30], null, s16, v24, 0
	v_sub_nc_u16 v34, v31, v10
	v_add_co_ci_u32_e32 v10, vcc_lo, v33, v28, vcc_lo
	v_lshlrev_b64 v[26:27], 3, v[25:26]
	v_lshlrev_b64 v[31:32], 3, v[1:2]
	v_and_b32_e32 v25, 0xffff, v34
	v_mov_b32_e32 v28, v30
	v_mul_u32_u24_sdwa v1, v36, v56 dst_sel:DWORD dst_unused:UNUSED_PAD src0_sel:WORD_0 src1_sel:DWORD
	v_lshlrev_b32_e32 v16, 3, v16
	v_mul_u32_u24_e32 v12, 0x910, v12
	v_mul_u32_u24_e32 v13, 0x910, v13
	v_mad_u64_u32 v[33:34], null, s17, v24, v[28:29]
	v_mad_u64_u32 v[34:35], null, s16, v25, 0
	v_add_co_u32 v28, vcc_lo, s15, v26
	v_lshrrev_b32_e32 v26, 19, v1
	v_add_co_ci_u32_e32 v27, vcc_lo, s22, v27, vcc_lo
	v_mov_b32_e32 v30, v33
	v_mov_b32_e32 v1, v35
	v_add_co_u32 v31, vcc_lo, v28, v31
	v_mul_lo_u16 v33, 0x121, v26
	v_add_co_ci_u32_e32 v32, vcc_lo, v27, v32, vcc_lo
	v_lshlrev_b64 v[27:28], 3, v[29:30]
	v_mad_u64_u32 v[29:30], null, s17, v25, v[1:2]
	v_sub_nc_u16 v33, v36, v33
	v_mul_lo_u32 v1, s18, v22
	v_mul_u32_u24_sdwa v36, v37, v56 dst_sel:DWORD dst_unused:UNUSED_PAD src0_sel:WORD_0 src1_sel:DWORD
	v_add_co_u32 v38, vcc_lo, s15, v27
	v_and_b32_e32 v27, 0xffff, v33
	v_mov_b32_e32 v35, v29
	v_add_co_ci_u32_e32 v39, vcc_lo, s22, v28, vcc_lo
	v_lshrrev_b32_e32 v28, 19, v36
	v_lshlrev_b64 v[29:30], 3, v[1:2]
	v_lshlrev_b64 v[33:34], 3, v[34:35]
	v_mad_u64_u32 v[35:36], null, s16, v27, 0
	v_mul_lo_u32 v1, s18, v23
	v_mul_lo_u16 v40, 0x121, v28
	v_add_co_u32 v29, vcc_lo, v38, v29
	v_add_co_ci_u32_e32 v30, vcc_lo, v39, v30, vcc_lo
	v_sub_nc_u16 v38, v37, v40
	v_add_co_u32 v40, vcc_lo, s15, v33
	v_mov_b32_e32 v33, v36
	v_lshlrev_b64 v[36:37], 3, v[1:2]
	v_mul_u32_u24_sdwa v1, v42, v56 dst_sel:DWORD dst_unused:UNUSED_PAD src0_sel:WORD_0 src1_sel:DWORD
	v_add_co_ci_u32_e32 v41, vcc_lo, s22, v34, vcc_lo
	v_and_b32_e32 v59, 0xffff, v38
	v_mad_u64_u32 v[33:34], null, s17, v27, v[33:34]
	v_lshrrev_b32_e32 v60, 19, v1
	v_mul_u32_u24_sdwa v1, v43, v56 dst_sel:DWORD dst_unused:UNUSED_PAD src0_sel:WORD_0 src1_sel:DWORD
	v_mad_u64_u32 v[38:39], null, s16, v59, 0
	v_add_co_u32 v40, vcc_lo, v40, v36
	v_mul_lo_u16 v34, 0x121, v60
	v_mov_b32_e32 v36, v33
	v_lshrrev_b32_e32 v61, 19, v1
	v_add_co_ci_u32_e32 v41, vcc_lo, v41, v37, vcc_lo
	v_mov_b32_e32 v33, v39
	v_sub_nc_u16 v39, v42, v34
	v_lshlrev_b64 v[34:35], 3, v[35:36]
	v_mul_lo_u16 v42, 0x121, v61
	v_mul_lo_u32 v1, s18, v26
	v_mul_u32_u24_e32 v15, 0x910, v15
	v_and_b32_e32 v62, 0xffff, v39
	v_mad_u64_u32 v[36:37], null, s17, v59, v[33:34]
	v_sub_nc_u16 v37, v43, v42
	v_mad_u64_u32 v[42:43], null, s16, v62, 0
	v_add_co_u32 v44, vcc_lo, s15, v34
	v_and_b32_e32 v63, 0xffff, v37
	v_mov_b32_e32 v39, v36
	v_add_co_ci_u32_e32 v45, vcc_lo, s22, v35, vcc_lo
	v_lshlrev_b64 v[33:34], 3, v[1:2]
	v_mul_lo_u32 v1, s18, v28
	v_mad_u64_u32 v[35:36], null, s16, v63, 0
	v_lshlrev_b64 v[38:39], 3, v[38:39]
	v_mov_b32_e32 v37, v43
	v_add_co_u32 v33, vcc_lo, v44, v33
	v_add_co_ci_u32_e32 v34, vcc_lo, v45, v34, vcc_lo
	v_lshlrev_b64 v[44:45], 3, v[1:2]
	v_mov_b32_e32 v1, v36
	v_mul_u32_u24_sdwa v36, v48, v56 dst_sel:DWORD dst_unused:UNUSED_PAD src0_sel:WORD_0 src1_sel:DWORD
	v_mad_u64_u32 v[46:47], null, s17, v62, v[37:38]
	v_add_co_u32 v38, vcc_lo, s15, v38
	v_lshrrev_b32_e32 v64, 19, v36
	v_add_co_ci_u32_e32 v39, vcc_lo, s22, v39, vcc_lo
	v_mad_u64_u32 v[36:37], null, s17, v63, v[1:2]
	v_mov_b32_e32 v43, v46
	v_mul_lo_u16 v46, 0x121, v64
	v_add_co_u32 v37, vcc_lo, v38, v44
	v_add_co_ci_u32_e32 v38, vcc_lo, v39, v45, vcc_lo
	v_sub_nc_u16 v39, v48, v46
	v_mul_lo_u32 v1, s18, v60
	v_lshlrev_b64 v[42:43], 3, v[42:43]
	v_add_nc_u16 v48, v0, 0x682
	v_lshlrev_b64 v[35:36], 3, v[35:36]
	v_and_b32_e32 v65, 0xffff, v39
	v_mul_u32_u24_sdwa v39, v48, v56 dst_sel:DWORD dst_unused:UNUSED_PAD src0_sel:WORD_0 src1_sel:DWORD
	v_add_co_u32 v46, vcc_lo, s15, v42
	v_lshlrev_b64 v[44:45], 3, v[1:2]
	v_mul_lo_u32 v1, s18, v61
	v_add_co_ci_u32_e32 v47, vcc_lo, s22, v43, vcc_lo
	v_mad_u64_u32 v[42:43], null, s16, v65, 0
	v_lshrrev_b32_e32 v66, 19, v39
	v_add_co_u32 v44, vcc_lo, v46, v44
	v_add_co_ci_u32_e32 v45, vcc_lo, v47, v45, vcc_lo
	v_lshlrev_b64 v[46:47], 3, v[1:2]
	v_mov_b32_e32 v1, v43
	v_mul_lo_u16 v39, 0x121, v66
	v_add_co_u32 v43, vcc_lo, s15, v35
	v_add_co_ci_u32_e32 v49, vcc_lo, s22, v36, vcc_lo
	v_mad_u64_u32 v[35:36], null, s17, v65, v[1:2]
	v_sub_nc_u16 v1, v48, v39
	v_add_co_u32 v46, vcc_lo, v43, v46
	v_add_co_ci_u32_e32 v47, vcc_lo, v49, v47, vcc_lo
	v_and_b32_e32 v67, 0xffff, v1
	v_mad_u64_u32 v[48:49], null, s16, v11, 0
	v_mul_u32_u24_sdwa v39, v57, v56 dst_sel:DWORD dst_unused:UNUSED_PAD src0_sel:WORD_0 src1_sel:DWORD
	v_add_nc_u16 v1, v0, 0x77
	v_mov_b32_e32 v43, v35
	v_mad_u64_u32 v[35:36], null, s16, v67, 0
	v_lshrrev_b32_e32 v69, 19, v39
	v_mov_b32_e32 v39, v49
	v_and_b32_e32 v68, 0xffff, v1
	v_lshlrev_b64 v[42:43], 3, v[42:43]
	v_mul_lo_u32 v1, s18, v64
	v_mul_lo_u16 v49, 0x121, v69
	v_mad_u64_u32 v[52:53], null, s17, v67, v[36:37]
	v_mad_u64_u32 v[53:54], null, s17, v11, v[39:40]
	v_add_nc_u16 v39, v0, 0x770
	v_mad_u64_u32 v[50:51], null, s16, v68, 0
	v_add_co_u32 v58, vcc_lo, s15, v42
	v_add_co_ci_u32_e32 v70, vcc_lo, s22, v43, vcc_lo
	v_lshlrev_b64 v[42:43], 3, v[1:2]
	v_mul_u32_u24_sdwa v1, v39, v56 dst_sel:DWORD dst_unused:UNUSED_PAD src0_sel:WORD_0 src1_sel:DWORD
	v_mov_b32_e32 v36, v51
	v_sub_nc_u16 v51, v57, v49
	v_mov_b32_e32 v49, v53
	v_lshl_add_u32 v11, v11, 3, 0
	v_lshrrev_b32_e32 v72, 19, v1
	v_mad_u64_u32 v[54:55], null, s17, v68, v[36:37]
	v_and_b32_e32 v71, 0xffff, v51
	v_mov_b32_e32 v36, v52
	v_mul_lo_u16 v1, 0x121, v72
	v_lshlrev_b64 v[48:49], 3, v[48:49]
	v_mad_u64_u32 v[52:53], null, s16, v71, 0
	v_sub_nc_u16 v39, v39, v1
	v_mov_b32_e32 v51, v54
	v_add_co_u32 v48, vcc_lo, s15, v48
	v_add_co_ci_u32_e32 v49, vcc_lo, s22, v49, vcc_lo
	v_and_b32_e32 v73, 0xffff, v39
	v_mov_b32_e32 v39, v53
	v_lshlrev_b64 v[50:51], 3, v[50:51]
	v_mul_lo_u32 v1, s18, v66
	v_lshlrev_b64 v[35:36], 3, v[35:36]
	v_mad_u64_u32 v[54:55], null, s16, v73, 0
	v_mad_u64_u32 v[56:57], null, s17, v71, v[39:40]
	v_add_co_u32 v50, vcc_lo, s15, v50
	v_add_co_ci_u32_e32 v51, vcc_lo, s22, v51, vcc_lo
	v_mov_b32_e32 v39, v55
	v_add_co_u32 v42, vcc_lo, v58, v42
	v_mov_b32_e32 v53, v56
	s_clause 0x1
	global_load_dwordx2 v[48:49], v[48:49], off
	global_load_dwordx2 v[50:51], v[50:51], off
	v_add_co_ci_u32_e32 v43, vcc_lo, v70, v43, vcc_lo
	v_lshlrev_b64 v[57:58], 3, v[1:2]
	v_mad_u64_u32 v[55:56], null, s17, v73, v[39:40]
	v_add_co_u32 v39, vcc_lo, s15, v35
	v_add_co_ci_u32_e32 v56, vcc_lo, s22, v36, vcc_lo
	v_lshlrev_b64 v[35:36], 3, v[52:53]
	v_mul_lo_u32 v1, s18, v69
	global_load_dwordx2 v[7:8], v[7:8], off
	v_add_co_u32 v52, vcc_lo, v39, v57
	v_add_co_ci_u32_e32 v53, vcc_lo, v56, v58, vcc_lo
	s_clause 0x3
	global_load_dwordx2 v[3:4], v[3:4], off
	global_load_dwordx2 v[5:6], v[5:6], off
	;; [unrolled: 1-line block ×4, first 2 shown]
	v_add_co_u32 v56, vcc_lo, s15, v35
	v_add_co_ci_u32_e32 v57, vcc_lo, s22, v36, vcc_lo
	v_lshlrev_b64 v[35:36], 3, v[1:2]
	v_mul_lo_u32 v1, s18, v72
	global_load_dwordx2 v[29:30], v[29:30], off
	v_lshlrev_b64 v[54:55], 3, v[54:55]
	s_clause 0x4
	global_load_dwordx2 v[39:40], v[40:41], off
	global_load_dwordx2 v[33:34], v[33:34], off
	;; [unrolled: 1-line block ×5, first 2 shown]
	v_add_co_u32 v35, vcc_lo, v56, v35
	v_add_co_ci_u32_e32 v36, vcc_lo, v57, v36, vcc_lo
	v_lshlrev_b64 v[1:2], 3, v[1:2]
	v_add_co_u32 v41, vcc_lo, s15, v54
	v_add_co_ci_u32_e32 v54, vcc_lo, s22, v55, vcc_lo
	s_mov_b32 s15, 0
	v_add_co_u32 v1, vcc_lo, v41, v1
	v_add_co_ci_u32_e32 v2, vcc_lo, v54, v2, vcc_lo
	s_clause 0x3
	global_load_dwordx2 v[41:42], v[42:43], off
	global_load_dwordx2 v[52:53], v[52:53], off
	;; [unrolled: 1-line block ×4, first 2 shown]
	v_lshl_add_u32 v43, v68, 3, 0
	s_waitcnt vmcnt(16)
	ds_write_b64 v11, v[48:49]
	s_waitcnt vmcnt(15)
	ds_write_b64 v43, v[50:51]
	v_add3_u32 v11, 0, v14, v16
	v_lshlrev_b32_e32 v14, 3, v18
	v_lshlrev_b32_e32 v16, 3, v17
	;; [unrolled: 1-line block ×3, first 2 shown]
	v_mul_u32_u24_e32 v18, 0x910, v19
	v_lshlrev_b32_e32 v19, 3, v21
	s_waitcnt vmcnt(14)
	ds_write_b64 v11, v[7:8]
	v_add3_u32 v7, 0, v12, v14
	v_add3_u32 v8, 0, v13, v16
	v_mul_u32_u24_e32 v13, 0x910, v22
	v_lshlrev_b32_e32 v14, 3, v24
	v_add3_u32 v11, 0, v15, v17
	v_add3_u32 v12, 0, v18, v19
	s_waitcnt vmcnt(13)
	ds_write_b64 v7, v[3:4]
	s_waitcnt vmcnt(12)
	ds_write_b64 v8, v[5:6]
	;; [unrolled: 2-line block ×4, first 2 shown]
	v_add3_u32 v3, 0, v13, v14
	v_mul_u32_u24_e32 v4, 0x910, v23
	v_lshlrev_b32_e32 v5, 3, v25
	v_mul_u32_u24_e32 v6, 0x910, v26
	v_lshlrev_b32_e32 v7, 3, v27
	;; [unrolled: 2-line block ×4, first 2 shown]
	s_waitcnt vmcnt(9)
	ds_write_b64 v3, v[29:30]
	v_add3_u32 v3, 0, v4, v5
	v_add3_u32 v4, 0, v6, v7
	;; [unrolled: 1-line block ×3, first 2 shown]
	v_mul_u32_u24_e32 v7, 0x910, v61
	v_lshlrev_b32_e32 v8, 3, v63
	v_add3_u32 v6, 0, v10, v11
	s_waitcnt vmcnt(8)
	ds_write_b64 v3, v[39:40]
	s_waitcnt vmcnt(7)
	ds_write_b64 v4, v[33:34]
	;; [unrolled: 2-line block ×4, first 2 shown]
	v_mul_u32_u24_e32 v4, 0x910, v64
	v_add3_u32 v3, 0, v7, v8
	v_lshlrev_b32_e32 v5, 3, v65
	v_mul_u32_u24_e32 v10, 0x910, v72
	v_lshlrev_b32_e32 v11, 3, v73
	v_mul_u32_u24_e32 v6, 0x910, v66
	;; [unrolled: 2-line block ×3, first 2 shown]
	v_lshlrev_b32_e32 v9, 3, v71
	v_add3_u32 v4, 0, v4, v5
	s_waitcnt vmcnt(4)
	ds_write_b64 v3, v[46:47]
	v_add3_u32 v3, 0, v10, v11
	v_add3_u32 v5, 0, v6, v7
	;; [unrolled: 1-line block ×3, first 2 shown]
	s_waitcnt vmcnt(3)
	ds_write_b64 v4, v[41:42]
	s_waitcnt vmcnt(2)
	ds_write_b64 v5, v[52:53]
	;; [unrolled: 2-line block ×4, first 2 shown]
.LBB0_2:
	s_load_dwordx2 s[4:5], s[4:5], 0x60
	s_andn2_b32 vcc_lo, exec_lo, s15
	s_cbranch_vccnz .LBB0_6
; %bb.3:
	s_lshl_b64 s[20:21], s[20:21], 3
	v_mov_b32_e32 v2, 0
	v_mov_b32_e32 v3, 0xe2c5
	;; [unrolled: 1-line block ×3, first 2 shown]
	s_add_u32 s10, s10, s20
	s_addc_u32 s15, s11, s21
	s_mov_b32 s11, 0
	s_inst_prefetch 0x1
	.p2align	6
.LBB0_4:                                ; =>This Inner Loop Header: Depth=1
	v_mul_u32_u24_sdwa v1, v4, v3 dst_sel:DWORD dst_unused:UNUSED_PAD src0_sel:WORD_0 src1_sel:DWORD
	v_lshrrev_b32_e32 v9, 24, v1
	v_mul_lo_u16 v1, 0x121, v9
	v_sub_nc_u16 v1, v4, v1
	v_add_nc_u32_e32 v4, 0x77, v4
	v_and_b32_e32 v10, 0xffff, v1
	v_mad_u64_u32 v[5:6], null, s16, v10, 0
	v_mov_b32_e32 v1, v6
	v_mad_u64_u32 v[6:7], null, s17, v10, v[1:2]
	v_mul_lo_u32 v1, v9, s18
	v_lshlrev_b64 v[5:6], 3, v[5:6]
	v_lshlrev_b64 v[7:8], 3, v[1:2]
	v_add_co_u32 v1, vcc_lo, s10, v5
	v_add_co_ci_u32_e32 v6, vcc_lo, s15, v6, vcc_lo
	v_add_co_u32 v5, vcc_lo, v1, v7
	v_add_co_ci_u32_e32 v6, vcc_lo, v6, v8, vcc_lo
	v_mul_u32_u24_e32 v1, 0x910, v9
	v_lshlrev_b32_e32 v7, 3, v10
	v_cmp_lt_u32_e32 vcc_lo, 0x7e6, v4
	global_load_dwordx2 v[5:6], v[5:6], off
	v_add3_u32 v1, 0, v1, v7
	s_or_b32 s11, vcc_lo, s11
	s_waitcnt vmcnt(0)
	ds_write_b64 v1, v[5:6]
	s_andn2_b32 exec_lo, exec_lo, s11
	s_cbranch_execnz .LBB0_4
; %bb.5:
	s_inst_prefetch 0x2
	s_or_b32 exec_lo, exec_lo, s11
.LBB0_6:
	v_mov_b32_e32 v1, 0xf10
	s_waitcnt lgkmcnt(0)
	s_barrier
	buffer_gl0_inv
	s_mul_hi_u32 s10, s12, s1
	v_mul_u32_u24_sdwa v1, v0, v1 dst_sel:DWORD dst_unused:UNUSED_PAD src0_sel:WORD_0 src1_sel:DWORD
	s_mul_i32 s19, s19, s14
	s_mul_i32 s11, s12, s1
	s_mul_i32 s7, s7, s24
	v_add_nc_u32_sdwa v1, s1, v1 dst_sel:DWORD dst_unused:UNUSED_PAD src0_sel:DWORD src1_sel:WORD_1
	v_mul_hi_u32 v2, 0x24924925, v1
	v_sub_nc_u32_e32 v3, v1, v2
	v_lshrrev_b32_e32 v3, 1, v3
	v_add_nc_u32_e32 v2, v3, v2
	v_mul_hi_u32 v3, 0xf0f0f10, v0
	v_lshrrev_b32_e32 v2, 2, v2
	v_mul_lo_u32 v2, v2, 7
	v_sub_nc_u32_e32 v1, v1, v2
	v_mul_u32_u24_e32 v2, 17, v3
	v_mul_u32_u24_e32 v1, 0x122, v1
	v_sub_nc_u32_e32 v29, v0, v2
	v_lshlrev_b32_e32 v1, 3, v1
	v_lshlrev_b32_e32 v2, 3, v29
	v_add_nc_u32_e32 v30, 0, v1
	v_add3_u32 v27, 0, v2, v1
	v_add_nc_u32_e32 v28, v30, v2
	v_add_nc_u32_e32 v1, 0x400, v27
	v_mad_u32_u24 v30, 0x88, v29, v30
	ds_read2_b64 v[31:34], v27 offset0:17 offset1:34
	ds_read_b64 v[25:26], v28
	ds_read2_b64 v[35:38], v1 offset0:127 offset1:144
	ds_read2_b64 v[17:20], v27 offset0:51 offset1:68
	;; [unrolled: 1-line block ×7, first 2 shown]
	s_waitcnt lgkmcnt(0)
	s_barrier
	buffer_gl0_inv
	v_add_f32_e32 v39, v25, v31
	v_add_f32_e32 v40, v26, v32
	;; [unrolled: 1-line block ×4, first 2 shown]
	v_sub_f32_e32 v45, v33, v35
	v_sub_f32_e32 v46, v34, v36
	v_add_f32_e32 v33, v39, v33
	v_add_f32_e32 v34, v40, v34
	;; [unrolled: 1-line block ×3, first 2 shown]
	v_sub_f32_e32 v32, v32, v38
	v_add_f32_e32 v41, v37, v31
	v_add_f32_e32 v33, v33, v17
	;; [unrolled: 1-line block ×3, first 2 shown]
	v_sub_f32_e32 v31, v31, v37
	v_mul_f32_e32 v39, 0xbeb8f4ab, v32
	v_mul_f32_e32 v47, 0xbf2c7751, v32
	v_add_f32_e32 v33, v33, v19
	v_add_f32_e32 v34, v34, v20
	v_mul_f32_e32 v49, 0xbf65296c, v32
	v_mul_f32_e32 v51, 0xbf7ee86f, v32
	v_mul_f32_e32 v53, 0xbf763a35, v32
	v_add_f32_e32 v33, v33, v9
	v_add_f32_e32 v34, v34, v10
	v_mul_f32_e32 v55, 0xbf4c4adb, v32
	v_mul_f32_e32 v57, 0xbf06c442, v32
	;; [unrolled: 1-line block ×3, first 2 shown]
	v_add_f32_e32 v33, v33, v11
	v_add_f32_e32 v34, v34, v12
	v_fmamk_f32 v61, v41, 0x3f6eb680, v39
	v_fma_f32 v39, 0x3f6eb680, v41, -v39
	v_fmamk_f32 v63, v41, 0x3f3d2fb0, v47
	v_add_f32_e32 v33, v33, v1
	v_add_f32_e32 v34, v34, v2
	v_fma_f32 v47, 0x3f3d2fb0, v41, -v47
	v_fmamk_f32 v65, v41, 0x3ee437d1, v49
	v_fma_f32 v49, 0x3ee437d1, v41, -v49
	v_add_f32_e32 v33, v33, v3
	v_add_f32_e32 v34, v34, v4
	v_fmamk_f32 v67, v41, 0x3dbcf732, v51
	v_fma_f32 v51, 0x3dbcf732, v41, -v51
	v_fmamk_f32 v69, v41, 0xbe8c1d8e, v53
	v_fma_f32 v53, 0xbe8c1d8e, v41, -v53
	;; [unrolled: 2-line block ×5, first 2 shown]
	v_add_f32_e32 v33, v33, v5
	v_add_f32_e32 v34, v34, v6
	v_add_f32_e32 v61, v25, v61
	v_add_f32_e32 v39, v25, v39
	v_add_f32_e32 v63, v25, v63
	v_add_f32_e32 v47, v25, v47
	v_add_f32_e32 v65, v25, v65
	v_add_f32_e32 v49, v25, v49
	v_add_f32_e32 v67, v25, v67
	v_add_f32_e32 v51, v25, v51
	v_add_f32_e32 v69, v25, v69
	v_add_f32_e32 v53, v25, v53
	v_add_f32_e32 v71, v25, v71
	v_add_f32_e32 v55, v25, v55
	v_add_f32_e32 v73, v25, v73
	v_add_f32_e32 v57, v25, v57
	v_add_f32_e32 v75, v25, v75
	v_add_f32_e32 v32, v25, v32
	v_add_f32_e32 v25, v33, v7
	v_add_f32_e32 v33, v34, v8
	v_mul_f32_e32 v40, 0x3f6eb680, v42
	v_mul_f32_e32 v48, 0x3f3d2fb0, v42
	;; [unrolled: 1-line block ×3, first 2 shown]
	v_add_f32_e32 v25, v25, v13
	v_add_f32_e32 v33, v33, v14
	v_mul_f32_e32 v52, 0x3dbcf732, v42
	v_mul_f32_e32 v54, 0xbe8c1d8e, v42
	;; [unrolled: 1-line block ×6, first 2 shown]
	v_add_f32_e32 v25, v25, v15
	v_add_f32_e32 v33, v33, v16
	v_mul_f32_e32 v60, 0x3f3d2fb0, v44
	v_fmamk_f32 v62, v31, 0x3eb8f4ab, v40
	v_fmac_f32_e32 v40, 0xbeb8f4ab, v31
	v_fmamk_f32 v64, v31, 0x3f2c7751, v48
	v_fmac_f32_e32 v48, 0xbf2c7751, v31
	;; [unrolled: 2-line block ×8, first 2 shown]
	v_fmamk_f32 v31, v43, 0x3f3d2fb0, v59
	v_add_f32_e32 v25, v25, v21
	v_add_f32_e32 v33, v33, v22
	;; [unrolled: 1-line block ×18, first 2 shown]
	v_mul_f32_e32 v26, 0xbf7ee86f, v46
	v_fmamk_f32 v42, v45, 0x3f2c7751, v60
	v_add_f32_e32 v31, v31, v61
	v_mul_f32_e32 v61, 0x3dbcf732, v44
	v_fma_f32 v59, 0x3f3d2fb0, v43, -v59
	v_fmac_f32_e32 v60, 0xbf2c7751, v45
	v_add_f32_e32 v25, v25, v23
	v_add_f32_e32 v33, v33, v24
	v_fma_f32 v76, 0x3dbcf732, v43, -v26
	v_add_f32_e32 v39, v59, v39
	v_fmamk_f32 v59, v43, 0x3dbcf732, v26
	v_add_f32_e32 v40, v60, v40
	v_fmamk_f32 v60, v45, 0x3f7ee86f, v61
	v_fmac_f32_e32 v61, 0xbf7ee86f, v45
	v_add_f32_e32 v25, v25, v35
	v_add_f32_e32 v26, v33, v36
	;; [unrolled: 1-line block ×3, first 2 shown]
	v_mul_f32_e32 v62, 0xbf4c4adb, v46
	v_add_f32_e32 v33, v59, v63
	v_add_f32_e32 v25, v25, v37
	;; [unrolled: 1-line block ×3, first 2 shown]
	v_mul_f32_e32 v37, 0xbf1a4643, v44
	v_add_f32_e32 v38, v76, v47
	v_add_f32_e32 v47, v61, v48
	v_mul_f32_e32 v48, 0xbe3c28d5, v46
	v_fmamk_f32 v35, v43, 0xbf1a4643, v62
	v_add_f32_e32 v36, v60, v64
	v_fmamk_f32 v59, v45, 0x3f4c4adb, v37
	v_fma_f32 v60, 0xbf1a4643, v43, -v62
	v_fmac_f32_e32 v37, 0xbf4c4adb, v45
	v_fmamk_f32 v61, v43, 0xbf7ba420, v48
	v_mul_f32_e32 v62, 0xbf7ba420, v44
	v_fma_f32 v48, 0xbf7ba420, v43, -v48
	v_add_f32_e32 v49, v60, v49
	v_add_f32_e32 v37, v37, v50
	;; [unrolled: 1-line block ×3, first 2 shown]
	v_fmamk_f32 v60, v45, 0x3e3c28d5, v62
	v_mul_f32_e32 v61, 0x3f06c442, v46
	v_fmac_f32_e32 v62, 0xbe3c28d5, v45
	v_mul_f32_e32 v63, 0xbf59a7d5, v44
	v_add_f32_e32 v48, v48, v51
	v_add_f32_e32 v35, v35, v65
	v_fmamk_f32 v64, v43, 0xbf59a7d5, v61
	v_add_f32_e32 v51, v62, v52
	v_mul_f32_e32 v62, 0x3f763a35, v46
	v_fma_f32 v61, 0xbf59a7d5, v43, -v61
	v_add_f32_e32 v59, v59, v66
	v_fmamk_f32 v52, v45, 0xbf06c442, v63
	v_fmac_f32_e32 v63, 0x3f06c442, v45
	v_fmamk_f32 v65, v43, 0xbe8c1d8e, v62
	v_mul_f32_e32 v66, 0xbe8c1d8e, v44
	v_add_f32_e32 v53, v61, v53
	v_mul_f32_e32 v61, 0x3f65296c, v46
	v_add_f32_e32 v60, v60, v68
	v_add_f32_e32 v54, v63, v54
	;; [unrolled: 1-line block ×3, first 2 shown]
	v_fmamk_f32 v65, v45, 0xbf763a35, v66
	v_fmac_f32_e32 v66, 0x3f763a35, v45
	v_fmamk_f32 v67, v43, 0x3ee437d1, v61
	v_mul_f32_e32 v68, 0x3ee437d1, v44
	v_fma_f32 v61, 0x3ee437d1, v43, -v61
	v_fma_f32 v62, 0xbe8c1d8e, v43, -v62
	v_add_f32_e32 v56, v66, v56
	v_mul_f32_e32 v46, 0x3eb8f4ab, v46
	v_fmamk_f32 v66, v45, 0xbf65296c, v68
	v_mul_f32_e32 v44, 0x3f6eb680, v44
	v_fmac_f32_e32 v68, 0x3f65296c, v45
	v_add_f32_e32 v57, v61, v57
	v_sub_f32_e32 v61, v18, v24
	v_add_f32_e32 v18, v24, v18
	v_add_f32_e32 v64, v64, v69
	;; [unrolled: 1-line block ×4, first 2 shown]
	v_fmamk_f32 v67, v43, 0x3f6eb680, v46
	v_fmamk_f32 v69, v45, 0xbeb8f4ab, v44
	v_add_f32_e32 v58, v68, v58
	v_add_f32_e32 v68, v23, v17
	v_mul_f32_e32 v24, 0xbf65296c, v61
	v_fma_f32 v43, 0x3f6eb680, v43, -v46
	v_fmac_f32_e32 v44, 0x3eb8f4ab, v45
	v_sub_f32_e32 v17, v17, v23
	v_mul_f32_e32 v23, 0x3ee437d1, v18
	v_fmamk_f32 v45, v68, 0x3ee437d1, v24
	v_add_f32_e32 v32, v43, v32
	v_add_f32_e32 v34, v44, v34
	v_mul_f32_e32 v43, 0xbf4c4adb, v61
	v_fmamk_f32 v44, v17, 0x3f65296c, v23
	v_add_f32_e32 v31, v45, v31
	v_fma_f32 v24, 0x3ee437d1, v68, -v24
	v_fmac_f32_e32 v23, 0xbf65296c, v17
	v_fmamk_f32 v45, v68, 0xbf1a4643, v43
	v_add_f32_e32 v42, v44, v42
	v_mul_f32_e32 v44, 0xbf1a4643, v18
	v_add_f32_e32 v24, v24, v39
	v_add_f32_e32 v23, v23, v40
	;; [unrolled: 1-line block ×3, first 2 shown]
	v_mul_f32_e32 v39, 0x3e3c28d5, v61
	v_fmamk_f32 v40, v17, 0x3f4c4adb, v44
	v_fma_f32 v43, 0xbf1a4643, v68, -v43
	v_fmac_f32_e32 v44, 0xbf4c4adb, v17
	v_mul_f32_e32 v45, 0xbf7ba420, v18
	v_fmamk_f32 v46, v68, 0xbf7ba420, v39
	v_add_f32_e32 v36, v40, v36
	v_add_f32_e32 v38, v43, v38
	;; [unrolled: 1-line block ×3, first 2 shown]
	v_fmamk_f32 v43, v17, 0xbe3c28d5, v45
	v_mul_f32_e32 v44, 0x3f763a35, v61
	v_fmac_f32_e32 v45, 0x3e3c28d5, v17
	v_add_f32_e32 v35, v46, v35
	v_fma_f32 v39, 0xbf7ba420, v68, -v39
	v_mul_f32_e32 v46, 0xbe8c1d8e, v18
	v_fmamk_f32 v47, v68, 0xbe8c1d8e, v44
	v_add_f32_e32 v37, v45, v37
	v_mul_f32_e32 v45, 0x3f2c7751, v61
	v_add_f32_e32 v43, v43, v59
	v_add_f32_e32 v39, v39, v49
	v_fmamk_f32 v49, v17, 0xbf763a35, v46
	v_add_f32_e32 v47, v47, v50
	v_fma_f32 v44, 0xbe8c1d8e, v68, -v44
	v_fmac_f32_e32 v46, 0x3f763a35, v17
	v_fmamk_f32 v50, v68, 0x3f3d2fb0, v45
	v_mul_f32_e32 v59, 0x3f3d2fb0, v18
	v_add_f32_e32 v52, v52, v70
	v_add_f32_e32 v49, v49, v60
	v_add_f32_e32 v44, v44, v48
	v_add_f32_e32 v46, v46, v51
	v_add_f32_e32 v48, v50, v64
	v_mul_f32_e32 v50, 0xbeb8f4ab, v61
	v_fmamk_f32 v51, v17, 0xbf2c7751, v59
	v_fma_f32 v45, 0x3f3d2fb0, v68, -v45
	v_fmac_f32_e32 v59, 0x3f2c7751, v17
	v_mul_f32_e32 v60, 0x3f6eb680, v18
	v_fmamk_f32 v64, v68, 0x3f6eb680, v50
	v_add_f32_e32 v51, v51, v52
	v_add_f32_e32 v45, v45, v53
	;; [unrolled: 1-line block ×3, first 2 shown]
	v_fmamk_f32 v53, v17, 0x3eb8f4ab, v60
	v_mul_f32_e32 v59, 0xbf7ee86f, v61
	v_fma_f32 v50, 0x3f6eb680, v68, -v50
	v_fmac_f32_e32 v60, 0xbeb8f4ab, v17
	v_add_f32_e32 v54, v64, v63
	v_add_f32_e32 v67, v67, v75
	v_fmamk_f32 v64, v68, 0x3dbcf732, v59
	v_add_f32_e32 v50, v50, v55
	v_add_f32_e32 v55, v60, v56
	v_mul_f32_e32 v56, 0xbf06c442, v61
	v_mul_f32_e32 v63, 0x3dbcf732, v18
	v_add_f32_e32 v61, v64, v62
	v_fma_f32 v59, 0x3dbcf732, v68, -v59
	v_mul_f32_e32 v18, 0xbf59a7d5, v18
	v_fmamk_f32 v62, v68, 0xbf59a7d5, v56
	v_fmamk_f32 v60, v17, 0x3f7ee86f, v63
	v_fmac_f32_e32 v63, 0xbf7ee86f, v17
	v_add_f32_e32 v57, v59, v57
	v_add_f32_e32 v41, v69, v41
	;; [unrolled: 1-line block ×3, first 2 shown]
	v_sub_f32_e32 v62, v20, v22
	v_add_f32_e32 v20, v22, v20
	v_add_f32_e32 v58, v63, v58
	v_fmamk_f32 v63, v17, 0x3f06c442, v18
	v_fma_f32 v56, 0xbf59a7d5, v68, -v56
	v_add_f32_e32 v22, v21, v19
	v_mul_f32_e32 v64, 0xbf7ee86f, v62
	v_fmac_f32_e32 v18, 0xbf06c442, v17
	v_sub_f32_e32 v17, v19, v21
	v_mul_f32_e32 v19, 0x3dbcf732, v20
	v_add_f32_e32 v21, v63, v41
	v_fmamk_f32 v41, v22, 0x3dbcf732, v64
	v_add_f32_e32 v32, v56, v32
	v_add_f32_e32 v18, v18, v34
	v_fmamk_f32 v34, v17, 0x3f7ee86f, v19
	v_mul_f32_e32 v56, 0xbe3c28d5, v62
	v_fmac_f32_e32 v19, 0xbf7ee86f, v17
	v_add_f32_e32 v31, v41, v31
	v_fma_f32 v41, 0x3dbcf732, v22, -v64
	v_add_f32_e32 v34, v34, v42
	v_fmamk_f32 v42, v22, 0xbf7ba420, v56
	v_mul_f32_e32 v63, 0xbf7ba420, v20
	v_add_f32_e32 v19, v19, v23
	v_mul_f32_e32 v23, 0x3f763a35, v62
	v_add_f32_e32 v24, v41, v24
	v_add_f32_e32 v33, v42, v33
	v_fmamk_f32 v41, v17, 0x3e3c28d5, v63
	v_fma_f32 v42, 0xbf7ba420, v22, -v56
	v_fmamk_f32 v56, v22, 0xbe8c1d8e, v23
	v_mul_f32_e32 v64, 0xbe8c1d8e, v20
	v_fmac_f32_e32 v63, 0xbe3c28d5, v17
	v_add_f32_e32 v36, v41, v36
	v_add_f32_e32 v38, v42, v38
	;; [unrolled: 1-line block ×3, first 2 shown]
	v_fmamk_f32 v41, v17, 0xbf763a35, v64
	v_mul_f32_e32 v42, 0x3eb8f4ab, v62
	v_fma_f32 v23, 0xbe8c1d8e, v22, -v23
	v_mul_f32_e32 v56, 0x3f6eb680, v20
	v_add_f32_e32 v40, v63, v40
	v_add_f32_e32 v41, v41, v43
	v_fmamk_f32 v43, v22, 0x3f6eb680, v42
	v_add_f32_e32 v23, v23, v39
	v_fmamk_f32 v39, v17, 0xbeb8f4ab, v56
	v_mul_f32_e32 v63, 0xbf65296c, v62
	v_fma_f32 v42, 0x3f6eb680, v22, -v42
	v_fmac_f32_e32 v56, 0x3eb8f4ab, v17
	v_fmac_f32_e32 v64, 0x3f763a35, v17
	v_add_f32_e32 v43, v43, v47
	v_add_f32_e32 v39, v39, v49
	v_fmamk_f32 v47, v22, 0x3ee437d1, v63
	v_mul_f32_e32 v49, 0x3ee437d1, v20
	v_add_f32_e32 v42, v42, v44
	v_add_f32_e32 v44, v56, v46
	v_mul_f32_e32 v46, 0xbf06c442, v62
	v_add_f32_e32 v65, v65, v72
	v_add_f32_e32 v37, v64, v37
	;; [unrolled: 1-line block ×3, first 2 shown]
	v_fmamk_f32 v48, v17, 0x3f65296c, v49
	v_fma_f32 v56, 0x3ee437d1, v22, -v63
	v_fmac_f32_e32 v49, 0xbf65296c, v17
	v_fmamk_f32 v63, v22, 0xbf59a7d5, v46
	v_mul_f32_e32 v64, 0xbf59a7d5, v20
	v_add_f32_e32 v66, v66, v74
	v_add_f32_e32 v53, v53, v65
	;; [unrolled: 1-line block ×6, first 2 shown]
	v_fmamk_f32 v52, v17, 0x3f06c442, v64
	v_mul_f32_e32 v54, 0x3f4c4adb, v62
	v_fma_f32 v46, 0xbf59a7d5, v22, -v46
	v_mul_f32_e32 v56, 0xbf1a4643, v20
	v_add_f32_e32 v60, v60, v66
	v_add_f32_e32 v52, v52, v53
	v_fmamk_f32 v53, v22, 0xbf1a4643, v54
	v_add_f32_e32 v46, v46, v50
	v_fmamk_f32 v50, v17, 0xbf4c4adb, v56
	v_mul_f32_e32 v62, 0x3f2c7751, v62
	v_fma_f32 v54, 0xbf1a4643, v22, -v54
	v_fmac_f32_e32 v56, 0x3f4c4adb, v17
	v_add_f32_e32 v53, v53, v61
	v_add_f32_e32 v50, v50, v60
	v_fmamk_f32 v60, v22, 0x3f3d2fb0, v62
	v_add_f32_e32 v54, v54, v57
	v_sub_f32_e32 v57, v10, v16
	v_mul_f32_e32 v20, 0x3f3d2fb0, v20
	v_add_f32_e32 v56, v56, v58
	v_add_f32_e32 v58, v60, v59
	v_add_f32_e32 v60, v15, v9
	v_mul_f32_e32 v61, 0xbf763a35, v57
	v_add_f32_e32 v10, v16, v10
	v_fmac_f32_e32 v64, 0xbf06c442, v17
	v_fmamk_f32 v59, v17, 0xbf2c7751, v20
	v_fma_f32 v16, 0x3f3d2fb0, v22, -v62
	v_fmac_f32_e32 v20, 0x3f2c7751, v17
	v_sub_f32_e32 v9, v9, v15
	v_fmamk_f32 v15, v60, 0xbe8c1d8e, v61
	v_mul_f32_e32 v17, 0xbe8c1d8e, v10
	v_add_f32_e32 v16, v16, v32
	v_add_f32_e32 v18, v20, v18
	v_mul_f32_e32 v22, 0x3f06c442, v57
	v_add_f32_e32 v15, v15, v31
	v_fmamk_f32 v20, v9, 0x3f763a35, v17
	v_fma_f32 v31, 0xbe8c1d8e, v60, -v61
	v_fmac_f32_e32 v17, 0xbf763a35, v9
	v_mul_f32_e32 v32, 0xbf59a7d5, v10
	v_add_f32_e32 v21, v59, v21
	v_add_f32_e32 v20, v20, v34
	v_fmamk_f32 v34, v60, 0xbf59a7d5, v22
	v_add_f32_e32 v24, v31, v24
	v_add_f32_e32 v17, v17, v19
	v_fmamk_f32 v19, v9, 0xbf06c442, v32
	v_mul_f32_e32 v31, 0x3f2c7751, v57
	v_fma_f32 v22, 0xbf59a7d5, v60, -v22
	v_add_f32_e32 v33, v34, v33
	v_fmac_f32_e32 v32, 0x3f06c442, v9
	v_add_f32_e32 v19, v19, v36
	v_fmamk_f32 v34, v60, 0x3f3d2fb0, v31
	v_mul_f32_e32 v36, 0x3f3d2fb0, v10
	v_add_f32_e32 v22, v22, v38
	v_mul_f32_e32 v38, 0xbf65296c, v57
	v_add_f32_e32 v32, v32, v40
	v_add_f32_e32 v34, v34, v35
	v_fmamk_f32 v35, v9, 0xbf2c7751, v36
	v_fma_f32 v31, 0x3f3d2fb0, v60, -v31
	v_fmac_f32_e32 v36, 0x3f2c7751, v9
	v_fmamk_f32 v40, v60, 0x3ee437d1, v38
	v_mul_f32_e32 v59, 0x3ee437d1, v10
	v_add_f32_e32 v35, v35, v41
	v_add_f32_e32 v23, v31, v23
	;; [unrolled: 1-line block ×4, first 2 shown]
	v_fmamk_f32 v37, v9, 0x3f65296c, v59
	v_mul_f32_e32 v40, 0xbe3c28d5, v57
	v_fma_f32 v38, 0x3ee437d1, v60, -v38
	v_fmac_f32_e32 v59, 0xbf65296c, v9
	v_mul_f32_e32 v41, 0xbf7ba420, v10
	v_add_f32_e32 v37, v37, v39
	v_fmamk_f32 v39, v60, 0xbf7ba420, v40
	v_add_f32_e32 v38, v38, v42
	v_add_f32_e32 v42, v59, v44
	v_fmamk_f32 v43, v9, 0x3e3c28d5, v41
	v_mul_f32_e32 v44, 0x3f7ee86f, v57
	v_fma_f32 v40, 0xbf7ba420, v60, -v40
	v_add_f32_e32 v39, v39, v47
	v_fmac_f32_e32 v41, 0xbe3c28d5, v9
	v_add_f32_e32 v43, v43, v48
	v_fmamk_f32 v47, v60, 0x3dbcf732, v44
	v_mul_f32_e32 v48, 0x3dbcf732, v10
	v_add_f32_e32 v40, v40, v45
	v_mul_f32_e32 v45, 0xbeb8f4ab, v57
	v_add_f32_e32 v55, v64, v55
	v_add_f32_e32 v41, v41, v49
	;; [unrolled: 1-line block ×3, first 2 shown]
	v_fmamk_f32 v49, v9, 0xbf7ee86f, v48
	v_fma_f32 v44, 0x3dbcf732, v60, -v44
	v_fmac_f32_e32 v48, 0x3f7ee86f, v9
	v_fmamk_f32 v51, v60, 0x3f6eb680, v45
	v_mul_f32_e32 v59, 0x3f6eb680, v10
	v_mul_f32_e32 v10, 0xbf1a4643, v10
	v_add_f32_e32 v49, v49, v52
	v_add_f32_e32 v44, v44, v46
	;; [unrolled: 1-line block ×4, first 2 shown]
	v_fmamk_f32 v51, v9, 0x3eb8f4ab, v59
	v_mul_f32_e32 v52, 0xbf4c4adb, v57
	v_fmamk_f32 v53, v9, 0x3f4c4adb, v10
	v_sub_f32_e32 v55, v12, v14
	v_add_f32_e32 v12, v14, v12
	v_fmac_f32_e32 v59, 0xbeb8f4ab, v9
	v_add_f32_e32 v50, v51, v50
	v_fmamk_f32 v51, v60, 0xbf1a4643, v52
	v_add_f32_e32 v21, v53, v21
	v_add_f32_e32 v53, v13, v11
	v_mul_f32_e32 v14, 0xbf4c4adb, v55
	v_fma_f32 v52, 0xbf1a4643, v60, -v52
	v_fmac_f32_e32 v10, 0xbf4c4adb, v9
	v_sub_f32_e32 v9, v11, v13
	v_mul_f32_e32 v11, 0xbf1a4643, v12
	v_fmamk_f32 v13, v53, 0xbf1a4643, v14
	v_add_f32_e32 v16, v52, v16
	v_add_f32_e32 v10, v10, v18
	v_mul_f32_e32 v18, 0x3f763a35, v55
	v_fmamk_f32 v52, v9, 0x3f4c4adb, v11
	v_add_f32_e32 v13, v13, v15
	v_fma_f32 v14, 0xbf1a4643, v53, -v14
	v_fmac_f32_e32 v11, 0xbf4c4adb, v9
	v_fmamk_f32 v15, v53, 0xbe8c1d8e, v18
	v_add_f32_e32 v20, v52, v20
	v_mul_f32_e32 v52, 0xbe8c1d8e, v12
	v_fma_f32 v45, 0x3f6eb680, v60, -v45
	v_add_f32_e32 v14, v14, v24
	v_add_f32_e32 v11, v11, v17
	;; [unrolled: 1-line block ×3, first 2 shown]
	v_mul_f32_e32 v17, 0xbeb8f4ab, v55
	v_fmamk_f32 v24, v9, 0xbf763a35, v52
	v_mul_f32_e32 v33, 0x3f6eb680, v12
	v_add_f32_e32 v45, v45, v54
	v_add_f32_e32 v54, v59, v56
	v_fma_f32 v18, 0xbe8c1d8e, v53, -v18
	v_fmac_f32_e32 v52, 0x3f763a35, v9
	v_fmamk_f32 v56, v53, 0x3f6eb680, v17
	v_add_f32_e32 v19, v24, v19
	v_fmamk_f32 v24, v9, 0x3eb8f4ab, v33
	v_add_f32_e32 v18, v18, v22
	v_add_f32_e32 v22, v52, v32
	v_add_f32_e32 v32, v56, v34
	v_mul_f32_e32 v34, 0xbf06c442, v55
	v_fma_f32 v17, 0x3f6eb680, v53, -v17
	v_fmac_f32_e32 v33, 0xbeb8f4ab, v9
	v_add_f32_e32 v24, v24, v35
	v_mul_f32_e32 v35, 0xbf59a7d5, v12
	v_fmamk_f32 v52, v53, 0xbf59a7d5, v34
	v_add_f32_e32 v17, v17, v23
	v_add_f32_e32 v23, v33, v31
	v_mul_f32_e32 v31, 0x3f7ee86f, v55
	v_fmamk_f32 v33, v9, 0x3f06c442, v35
	v_add_f32_e32 v36, v52, v36
	v_fma_f32 v34, 0xbf59a7d5, v53, -v34
	v_fmac_f32_e32 v35, 0xbf06c442, v9
	v_fmamk_f32 v52, v53, 0x3dbcf732, v31
	v_add_f32_e32 v33, v33, v37
	v_mul_f32_e32 v37, 0x3dbcf732, v12
	v_add_f32_e32 v34, v34, v38
	v_add_f32_e32 v35, v35, v42
	;; [unrolled: 1-line block ×3, first 2 shown]
	v_mul_f32_e32 v39, 0xbf2c7751, v55
	v_fmamk_f32 v42, v9, 0xbf7ee86f, v37
	v_fma_f32 v31, 0x3dbcf732, v53, -v31
	v_mul_f32_e32 v52, 0x3f3d2fb0, v12
	v_fmac_f32_e32 v37, 0x3f7ee86f, v9
	v_fmamk_f32 v56, v53, 0x3f3d2fb0, v39
	v_add_f32_e32 v42, v42, v43
	v_add_f32_e32 v31, v31, v40
	v_fmamk_f32 v40, v9, 0x3f2c7751, v52
	v_mul_f32_e32 v43, 0xbe3c28d5, v55
	v_fma_f32 v39, 0x3f3d2fb0, v53, -v39
	v_fmac_f32_e32 v52, 0xbf2c7751, v9
	v_add_f32_e32 v37, v37, v41
	v_add_f32_e32 v41, v56, v47
	;; [unrolled: 1-line block ×3, first 2 shown]
	v_mul_f32_e32 v47, 0xbf7ba420, v12
	v_fmamk_f32 v49, v53, 0xbf7ba420, v43
	v_add_f32_e32 v39, v39, v44
	v_add_f32_e32 v44, v52, v46
	v_mul_f32_e32 v46, 0x3f65296c, v55
	v_add_f32_e32 v51, v51, v58
	v_fmamk_f32 v52, v9, 0x3e3c28d5, v47
	v_add_f32_e32 v48, v49, v48
	v_fma_f32 v43, 0xbf7ba420, v53, -v43
	v_fmac_f32_e32 v47, 0xbe3c28d5, v9
	v_fmamk_f32 v49, v53, 0x3ee437d1, v46
	v_mul_f32_e32 v12, 0x3ee437d1, v12
	v_add_f32_e32 v50, v52, v50
	v_add_f32_e32 v43, v43, v45
	;; [unrolled: 1-line block ×4, first 2 shown]
	v_sub_f32_e32 v49, v2, v8
	v_add_f32_e32 v2, v8, v2
	v_fmamk_f32 v51, v9, 0xbf65296c, v12
	v_fma_f32 v46, 0x3ee437d1, v53, -v46
	v_add_f32_e32 v8, v7, v1
	v_mul_f32_e32 v52, 0xbf06c442, v49
	v_fmac_f32_e32 v12, 0x3f65296c, v9
	v_sub_f32_e32 v1, v1, v7
	v_mul_f32_e32 v7, 0xbf59a7d5, v2
	v_add_f32_e32 v9, v51, v21
	v_fmamk_f32 v21, v8, 0xbf59a7d5, v52
	v_add_f32_e32 v16, v46, v16
	v_add_f32_e32 v10, v12, v10
	v_fmamk_f32 v12, v1, 0x3f06c442, v7
	v_mul_f32_e32 v46, 0x3f65296c, v49
	v_fmac_f32_e32 v7, 0xbf06c442, v1
	v_add_f32_e32 v13, v21, v13
	v_fma_f32 v21, 0xbf59a7d5, v8, -v52
	v_add_f32_e32 v12, v12, v20
	v_fmamk_f32 v20, v8, 0x3ee437d1, v46
	v_mul_f32_e32 v51, 0x3ee437d1, v2
	v_add_f32_e32 v7, v7, v11
	v_mul_f32_e32 v11, 0xbf7ee86f, v49
	v_add_f32_e32 v14, v21, v14
	v_add_f32_e32 v15, v20, v15
	v_fmamk_f32 v20, v1, 0xbf65296c, v51
	v_fma_f32 v21, 0x3ee437d1, v8, -v46
	v_fmac_f32_e32 v51, 0x3f65296c, v1
	v_fmamk_f32 v46, v8, 0x3dbcf732, v11
	v_mul_f32_e32 v52, 0x3dbcf732, v2
	v_add_f32_e32 v19, v20, v19
	v_add_f32_e32 v18, v21, v18
	;; [unrolled: 1-line block ×4, first 2 shown]
	v_fmamk_f32 v22, v1, 0x3f7ee86f, v52
	v_mul_f32_e32 v32, 0x3f4c4adb, v49
	v_fma_f32 v11, 0x3dbcf732, v8, -v11
	v_fmac_f32_e32 v52, 0xbf7ee86f, v1
	v_mul_f32_e32 v46, 0xbf1a4643, v2
	v_add_f32_e32 v22, v22, v24
	v_fmamk_f32 v24, v8, 0xbf1a4643, v32
	v_add_f32_e32 v11, v11, v17
	v_add_f32_e32 v17, v52, v23
	v_fmamk_f32 v23, v1, 0xbf4c4adb, v46
	v_mul_f32_e32 v51, 0xbeb8f4ab, v49
	v_fma_f32 v32, 0xbf1a4643, v8, -v32
	v_fmac_f32_e32 v46, 0x3f4c4adb, v1
	v_add_f32_e32 v24, v24, v36
	v_add_f32_e32 v23, v23, v33
	v_fmamk_f32 v33, v8, 0x3f6eb680, v51
	v_mul_f32_e32 v36, 0x3f6eb680, v2
	v_add_f32_e32 v32, v32, v34
	v_add_f32_e32 v34, v46, v35
	v_mul_f32_e32 v35, 0xbe3c28d5, v49
	v_add_f32_e32 v33, v33, v38
	v_fmamk_f32 v38, v1, 0x3eb8f4ab, v36
	v_fma_f32 v46, 0x3f6eb680, v8, -v51
	v_fmac_f32_e32 v36, 0xbeb8f4ab, v1
	v_fmamk_f32 v51, v8, 0xbf7ba420, v35
	v_mul_f32_e32 v52, 0xbf7ba420, v2
	v_add_f32_e32 v38, v38, v42
	v_add_f32_e32 v31, v46, v31
	;; [unrolled: 1-line block ×4, first 2 shown]
	v_fmamk_f32 v41, v1, 0x3e3c28d5, v52
	v_mul_f32_e32 v42, 0x3f2c7751, v49
	v_fma_f32 v35, 0xbf7ba420, v8, -v35
	v_fmac_f32_e32 v52, 0xbe3c28d5, v1
	v_mul_f32_e32 v46, 0x3f3d2fb0, v2
	v_add_f32_e32 v40, v41, v40
	v_fmamk_f32 v41, v8, 0x3f3d2fb0, v42
	v_add_f32_e32 v35, v35, v39
	v_add_f32_e32 v39, v52, v44
	v_fmamk_f32 v44, v1, 0xbf2c7751, v46
	v_mul_f32_e32 v49, 0xbf763a35, v49
	v_fma_f32 v42, 0x3f3d2fb0, v8, -v42
	v_fmac_f32_e32 v46, 0x3f2c7751, v1
	v_add_f32_e32 v41, v41, v48
	v_add_f32_e32 v44, v44, v50
	v_fmamk_f32 v48, v8, 0xbe8c1d8e, v49
	v_mul_f32_e32 v2, 0xbe8c1d8e, v2
	v_add_f32_e32 v42, v42, v43
	v_add_f32_e32 v43, v46, v45
	v_sub_f32_e32 v45, v4, v6
	v_add_f32_e32 v50, v6, v4
	v_fma_f32 v6, 0xbe8c1d8e, v8, -v49
	v_add_f32_e32 v46, v48, v47
	v_fmamk_f32 v47, v1, 0x3f763a35, v2
	v_add_f32_e32 v48, v5, v3
	v_mul_f32_e32 v4, 0xbe3c28d5, v45
	v_fmac_f32_e32 v2, 0xbf763a35, v1
	v_sub_f32_e32 v49, v3, v5
	v_mul_f32_e32 v5, 0xbf7ba420, v50
	v_add_f32_e32 v51, v6, v16
	v_mul_f32_e32 v6, 0x3eb8f4ab, v45
	v_fmamk_f32 v1, v48, 0xbf7ba420, v4
	v_add_f32_e32 v47, v47, v9
	v_add_f32_e32 v52, v2, v10
	v_fmamk_f32 v2, v49, 0x3e3c28d5, v5
	v_fma_f32 v3, 0xbf7ba420, v48, -v4
	v_fmac_f32_e32 v5, 0xbe3c28d5, v49
	v_mul_f32_e32 v8, 0x3f6eb680, v50
	v_fmamk_f32 v9, v48, 0x3f6eb680, v6
	v_mul_f32_e32 v10, 0xbf06c442, v45
	v_add_f32_e32 v1, v1, v13
	v_add_f32_e32 v2, v2, v12
	;; [unrolled: 1-line block ×4, first 2 shown]
	v_fmamk_f32 v7, v49, 0xbeb8f4ab, v8
	v_add_f32_e32 v5, v9, v15
	v_fma_f32 v9, 0x3f6eb680, v48, -v6
	v_fmamk_f32 v12, v48, 0xbf59a7d5, v10
	v_mul_f32_e32 v13, 0xbf59a7d5, v50
	v_mul_f32_e32 v14, 0x3f2c7751, v45
	v_add_f32_e32 v6, v7, v19
	v_add_f32_e32 v7, v9, v18
	;; [unrolled: 1-line block ×3, first 2 shown]
	v_fmamk_f32 v12, v49, 0x3f06c442, v13
	v_fmac_f32_e32 v13, 0xbf06c442, v49
	v_fmamk_f32 v18, v48, 0x3f3d2fb0, v14
	v_fmac_f32_e32 v8, 0x3eb8f4ab, v49
	v_fma_f32 v15, 0xbf59a7d5, v48, -v10
	v_mul_f32_e32 v16, 0x3f3d2fb0, v50
	v_add_f32_e32 v10, v12, v22
	v_add_f32_e32 v12, v13, v17
	;; [unrolled: 1-line block ×3, first 2 shown]
	v_mul_f32_e32 v18, 0xbf4c4adb, v45
	v_add_f32_e32 v8, v8, v20
	v_add_f32_e32 v11, v15, v11
	v_fmamk_f32 v15, v49, 0xbf2c7751, v16
	v_fma_f32 v17, 0x3f3d2fb0, v48, -v14
	v_mul_f32_e32 v20, 0xbf1a4643, v50
	v_fmamk_f32 v19, v48, 0xbf1a4643, v18
	v_mul_f32_e32 v22, 0x3f65296c, v45
	v_fmac_f32_e32 v16, 0x3f2c7751, v49
	v_add_f32_e32 v14, v15, v23
	v_add_f32_e32 v15, v17, v32
	v_fmamk_f32 v21, v49, 0x3f4c4adb, v20
	v_add_f32_e32 v17, v19, v33
	v_fma_f32 v19, 0xbf1a4643, v48, -v18
	v_fmamk_f32 v23, v48, 0x3ee437d1, v22
	v_mul_f32_e32 v24, 0x3ee437d1, v50
	v_add_f32_e32 v16, v16, v34
	v_fmac_f32_e32 v20, 0xbf4c4adb, v49
	v_add_f32_e32 v18, v21, v38
	v_add_f32_e32 v19, v19, v31
	;; [unrolled: 1-line block ×3, first 2 shown]
	v_mul_f32_e32 v32, 0xbf763a35, v45
	v_fmamk_f32 v23, v49, 0xbf65296c, v24
	v_fma_f32 v31, 0x3ee437d1, v48, -v22
	v_mul_f32_e32 v34, 0xbe8c1d8e, v50
	v_add_f32_e32 v20, v20, v36
	v_fmac_f32_e32 v24, 0x3f65296c, v49
	v_fmamk_f32 v33, v48, 0xbe8c1d8e, v32
	v_add_f32_e32 v22, v23, v40
	v_add_f32_e32 v23, v31, v35
	v_fmamk_f32 v35, v49, 0x3f763a35, v34
	v_mul_f32_e32 v36, 0x3f7ee86f, v45
	v_mul_f32_e32 v38, 0x3dbcf732, v50
	v_add_f32_e32 v24, v24, v39
	v_add_f32_e32 v31, v33, v41
	v_fma_f32 v33, 0xbe8c1d8e, v48, -v32
	v_add_f32_e32 v32, v35, v44
	v_fmamk_f32 v35, v48, 0x3dbcf732, v36
	v_fmamk_f32 v37, v49, 0xbf7ee86f, v38
	v_fma_f32 v39, 0x3dbcf732, v48, -v36
	v_fmac_f32_e32 v38, 0x3f7ee86f, v49
	v_fmac_f32_e32 v34, 0xbf763a35, v49
	v_add_f32_e32 v35, v35, v46
	v_add_f32_e32 v36, v37, v47
	;; [unrolled: 1-line block ×6, first 2 shown]
	ds_write2_b64 v30, v[25:26], v[1:2] offset1:1
	ds_write2_b64 v30, v[5:6], v[9:10] offset0:2 offset1:3
	ds_write2_b64 v30, v[13:14], v[17:18] offset0:4 offset1:5
	;; [unrolled: 1-line block ×7, first 2 shown]
	v_lshlrev_b32_e32 v9, 7, v29
	ds_write_b64 v30, v[3:4] offset:128
	s_waitcnt lgkmcnt(0)
	s_barrier
	buffer_gl0_inv
	s_clause 0x7
	global_load_dwordx4 v[1:4], v9, s[8:9]
	global_load_dwordx4 v[5:8], v9, s[8:9] offset:16
	global_load_dwordx4 v[10:13], v9, s[8:9] offset:32
	;; [unrolled: 1-line block ×7, first 2 shown]
	ds_read2_b64 v[14:17], v27 offset0:17 offset1:34
	ds_read2_b32 v[25:26], v27 offset0:102 offset1:103
	ds_read2_b64 v[45:48], v27 offset0:68 offset1:85
	ds_read_b64 v[69:70], v28
	ds_read2_b64 v[49:52], v27 offset0:102 offset1:119
	ds_read2_b64 v[53:56], v27 offset0:136 offset1:153
	;; [unrolled: 1-line block ×5, first 2 shown]
	ds_read_b64 v[71:72], v27 offset:2176
	s_waitcnt vmcnt(0) lgkmcnt(0)
	s_barrier
	buffer_gl0_inv
	s_mul_i32 s9, s13, s1
	s_mov_b32 s8, 0
	s_add_i32 s10, s10, s9
	s_add_u32 s9, s11, s19
	s_mul_hi_u32 s11, s6, s24
	s_mul_i32 s6, s6, s24
	s_addc_u32 s10, s10, 0
	s_add_i32 s11, s11, s7
	s_add_u32 s6, s9, s6
	s_addc_u32 s7, s10, s11
	s_andn2_b32 vcc_lo, exec_lo, s3
	v_mul_f32_e32 v28, v2, v15
	v_mul_f32_e32 v2, v2, v14
	;; [unrolled: 1-line block ×5, first 2 shown]
	v_fmac_f32_e32 v28, v1, v14
	v_fma_f32 v1, v1, v15, -v2
	v_mul_f32_e32 v2, v6, v25
	v_fmac_f32_e32 v74, v5, v25
	v_fmac_f32_e32 v73, v3, v16
	v_fma_f32 v75, v3, v17, -v4
	v_mul_f32_e32 v15, v48, v11
	v_fma_f32 v25, v26, v5, -v2
	v_mul_f32_e32 v2, v45, v8
	v_mul_f32_e32 v3, v47, v11
	;; [unrolled: 1-line block ×3, first 2 shown]
	v_add_f32_e32 v4, v1, v70
	v_mul_f32_e32 v19, v46, v8
	v_fma_f32 v20, v46, v7, -v2
	v_mul_f32_e32 v2, v49, v13
	v_fmac_f32_e32 v11, v49, v12
	v_add_f32_e32 v5, v4, v75
	v_fmac_f32_e32 v19, v45, v7
	v_fmac_f32_e32 v15, v47, v10
	v_fma_f32 v12, v50, v12, -v2
	v_add_f32_e32 v2, v28, v69
	v_add_f32_e32 v9, v5, v25
	v_fma_f32 v16, v48, v10, -v3
	v_mul_f32_e32 v7, v52, v22
	v_mul_f32_e32 v3, v51, v22
	v_add_f32_e32 v2, v2, v73
	v_add_f32_e32 v10, v9, v20
	v_mul_f32_e32 v6, v53, v24
	v_fmac_f32_e32 v7, v51, v21
	v_fma_f32 v8, v52, v21, -v3
	v_add_f32_e32 v2, v2, v74
	v_add_f32_e32 v14, v10, v16
	v_mul_f32_e32 v3, v54, v24
	v_mul_f32_e32 v4, v56, v30
	v_fma_f32 v5, v54, v23, -v6
	v_add_f32_e32 v2, v2, v19
	v_add_f32_e32 v14, v14, v12
	v_fmac_f32_e32 v3, v53, v23
	v_mul_f32_e32 v6, v55, v30
	v_fmac_f32_e32 v4, v55, v29
	v_add_f32_e32 v2, v2, v15
	v_add_f32_e32 v21, v14, v8
	v_mul_f32_e32 v9, v58, v32
	v_mul_f32_e32 v13, v57, v32
	v_fma_f32 v6, v56, v29, -v6
	v_add_f32_e32 v2, v2, v11
	v_add_f32_e32 v21, v21, v5
	v_fmac_f32_e32 v9, v57, v31
	v_fma_f32 v10, v58, v31, -v13
	v_mul_f32_e32 v13, v60, v34
	v_add_f32_e32 v2, v2, v7
	v_mul_f32_e32 v18, v59, v34
	v_add_f32_e32 v21, v21, v6
	v_mul_f32_e32 v17, v62, v36
	v_fmac_f32_e32 v13, v59, v33
	v_add_f32_e32 v2, v2, v3
	v_fma_f32 v14, v60, v33, -v18
	v_mul_f32_e32 v18, v61, v36
	v_add_f32_e32 v21, v21, v10
	v_fmac_f32_e32 v17, v61, v35
	v_add_f32_e32 v2, v2, v4
	v_mul_f32_e32 v22, v64, v38
	v_mul_f32_e32 v23, v63, v38
	v_fma_f32 v18, v62, v35, -v18
	v_add_f32_e32 v21, v21, v14
	v_add_f32_e32 v2, v2, v9
	v_fmac_f32_e32 v22, v63, v37
	v_fma_f32 v23, v64, v37, -v23
	v_mul_f32_e32 v24, v66, v40
	v_mul_f32_e32 v26, v65, v40
	v_add_f32_e32 v2, v2, v13
	v_add_f32_e32 v21, v21, v18
	v_mul_f32_e32 v29, v68, v42
	v_fmac_f32_e32 v24, v65, v39
	v_fma_f32 v26, v66, v39, -v26
	v_add_f32_e32 v2, v2, v17
	v_mul_f32_e32 v30, v71, v44
	v_mul_f32_e32 v32, v67, v42
	v_add_f32_e32 v21, v21, v23
	v_fmac_f32_e32 v29, v67, v41
	v_add_f32_e32 v2, v2, v22
	v_mul_f32_e32 v31, v72, v44
	v_fma_f32 v30, v72, v43, -v30
	v_fma_f32 v32, v68, v41, -v32
	v_add_f32_e32 v21, v21, v26
	v_add_f32_e32 v2, v2, v24
	v_fmac_f32_e32 v31, v71, v43
	v_sub_f32_e32 v33, v1, v30
	v_add_f32_e32 v35, v1, v30
	v_sub_f32_e32 v62, v75, v32
	v_add_f32_e32 v1, v2, v29
	v_add_f32_e32 v2, v21, v32
	;; [unrolled: 1-line block ×3, first 2 shown]
	v_mul_f32_e32 v36, 0xbeb8f4ab, v33
	v_sub_f32_e32 v21, v28, v31
	v_mul_f32_e32 v28, 0x3f6eb680, v35
	v_add_f32_e32 v2, v2, v30
	v_mul_f32_e32 v30, 0xbf2c7751, v33
	v_mul_f32_e32 v39, 0x3f3d2fb0, v35
	;; [unrolled: 1-line block ×14, first 2 shown]
	v_add_f32_e32 v32, v75, v32
	v_fmamk_f32 v37, v34, 0x3f6eb680, v36
	v_add_f32_e32 v1, v1, v31
	v_fmamk_f32 v31, v21, 0x3eb8f4ab, v28
	v_fma_f32 v36, 0x3f6eb680, v34, -v36
	v_fmac_f32_e32 v28, 0xbeb8f4ab, v21
	v_fmamk_f32 v38, v34, 0x3f3d2fb0, v30
	v_fmamk_f32 v41, v21, 0x3f2c7751, v39
	v_fma_f32 v30, 0x3f3d2fb0, v34, -v30
	v_fmac_f32_e32 v39, 0xbf2c7751, v21
	v_fmamk_f32 v43, v34, 0x3ee437d1, v40
	;; [unrolled: 4-line block ×7, first 2 shown]
	v_fmamk_f32 v63, v21, 0x3e3c28d5, v35
	v_fma_f32 v33, 0xbf7ba420, v34, -v33
	v_add_f32_e32 v34, v73, v29
	v_mul_f32_e32 v64, 0xbf2c7751, v62
	v_fmac_f32_e32 v35, 0xbe3c28d5, v21
	v_sub_f32_e32 v21, v73, v29
	v_mul_f32_e32 v29, 0x3f3d2fb0, v32
	v_add_f32_e32 v37, v37, v69
	v_add_f32_e32 v31, v31, v70
	v_fmamk_f32 v65, v34, 0x3f3d2fb0, v64
	v_mul_f32_e32 v67, 0xbf7ee86f, v62
	v_fmamk_f32 v66, v21, 0x3f2c7751, v29
	v_add_f32_e32 v36, v36, v69
	v_add_f32_e32 v38, v38, v69
	v_add_f32_e32 v37, v65, v37
	v_fma_f32 v64, 0x3f3d2fb0, v34, -v64
	v_add_f32_e32 v31, v66, v31
	v_fmamk_f32 v65, v34, 0x3dbcf732, v67
	v_mul_f32_e32 v66, 0x3dbcf732, v32
	v_add_f32_e32 v28, v28, v70
	v_add_f32_e32 v41, v41, v70
	;; [unrolled: 1-line block ×3, first 2 shown]
	v_fmac_f32_e32 v29, 0xbf2c7751, v21
	v_add_f32_e32 v36, v64, v36
	v_add_f32_e32 v38, v65, v38
	v_fmamk_f32 v64, v21, 0x3f7ee86f, v66
	v_fma_f32 v65, 0x3dbcf732, v34, -v67
	v_mul_f32_e32 v68, 0xbf1a4643, v32
	v_add_f32_e32 v39, v39, v70
	v_add_f32_e32 v44, v44, v70
	;; [unrolled: 1-line block ×3, first 2 shown]
	v_mul_f32_e32 v29, 0xbf4c4adb, v62
	v_fmac_f32_e32 v66, 0xbf7ee86f, v21
	v_add_f32_e32 v41, v64, v41
	v_add_f32_e32 v30, v65, v30
	v_fmamk_f32 v64, v21, 0x3f4c4adb, v68
	v_mul_f32_e32 v65, 0xbe3c28d5, v62
	v_add_f32_e32 v43, v43, v69
	v_add_f32_e32 v40, v40, v69
	;; [unrolled: 1-line block ×4, first 2 shown]
	v_fmamk_f32 v67, v34, 0xbf1a4643, v29
	v_add_f32_e32 v39, v66, v39
	v_fma_f32 v29, 0xbf1a4643, v34, -v29
	v_fmac_f32_e32 v68, 0xbf4c4adb, v21
	v_mul_f32_e32 v66, 0xbf7ba420, v32
	v_add_f32_e32 v44, v64, v44
	v_fmamk_f32 v64, v34, 0xbf7ba420, v65
	v_add_f32_e32 v49, v49, v70
	v_add_f32_e32 v45, v45, v69
	v_add_f32_e32 v43, v67, v43
	v_add_f32_e32 v29, v29, v40
	v_add_f32_e32 v40, v68, v42
	v_fmamk_f32 v42, v21, 0x3e3c28d5, v66
	v_mul_f32_e32 v67, 0x3f06c442, v62
	v_add_f32_e32 v47, v64, v47
	v_fma_f32 v64, 0xbf7ba420, v34, -v65
	v_add_f32_e32 v46, v46, v70
	v_add_f32_e32 v50, v50, v69
	v_fmac_f32_e32 v66, 0xbe3c28d5, v21
	v_add_f32_e32 v42, v42, v49
	v_fmamk_f32 v49, v34, 0xbf59a7d5, v67
	v_mul_f32_e32 v65, 0xbf59a7d5, v32
	v_add_f32_e32 v45, v64, v45
	v_mul_f32_e32 v64, 0x3f763a35, v62
	v_add_f32_e32 v53, v53, v70
	v_add_f32_e32 v51, v51, v70
	;; [unrolled: 1-line block ×5, first 2 shown]
	v_fmamk_f32 v50, v21, 0xbf06c442, v65
	v_fma_f32 v66, 0xbf59a7d5, v34, -v67
	v_fmac_f32_e32 v65, 0x3f06c442, v21
	v_fmamk_f32 v67, v34, 0xbe8c1d8e, v64
	v_mul_f32_e32 v68, 0xbe8c1d8e, v32
	v_add_f32_e32 v56, v56, v70
	v_add_f32_e32 v50, v50, v53
	;; [unrolled: 1-line block ×4, first 2 shown]
	v_fmamk_f32 v55, v21, 0xbf763a35, v68
	v_mul_f32_e32 v65, 0x3f65296c, v62
	v_add_f32_e32 v48, v48, v69
	v_add_f32_e32 v59, v59, v69
	;; [unrolled: 1-line block ×4, first 2 shown]
	v_fmamk_f32 v56, v34, 0x3ee437d1, v65
	v_add_f32_e32 v57, v57, v69
	v_add_f32_e32 v48, v66, v48
	v_fma_f32 v64, 0xbe8c1d8e, v34, -v64
	v_mul_f32_e32 v66, 0x3ee437d1, v32
	v_add_f32_e32 v56, v56, v59
	v_fma_f32 v59, 0x3ee437d1, v34, -v65
	v_add_f32_e32 v60, v60, v70
	v_add_f32_e32 v58, v58, v70
	;; [unrolled: 1-line block ×3, first 2 shown]
	v_fmamk_f32 v64, v21, 0xbf65296c, v66
	v_mul_f32_e32 v62, 0x3eb8f4ab, v62
	v_fmac_f32_e32 v66, 0x3f65296c, v21
	v_add_f32_e32 v57, v59, v57
	v_sub_f32_e32 v59, v25, v26
	v_add_f32_e32 v61, v61, v69
	v_add_f32_e32 v60, v64, v60
	v_fmamk_f32 v64, v34, 0x3f6eb680, v62
	v_mul_f32_e32 v32, 0x3f6eb680, v32
	v_add_f32_e32 v58, v66, v58
	v_add_f32_e32 v65, v74, v24
	v_mul_f32_e32 v66, 0xbf65296c, v59
	v_add_f32_e32 v25, v25, v26
	v_add_f32_e32 v63, v63, v70
	;; [unrolled: 1-line block ×4, first 2 shown]
	v_fmac_f32_e32 v68, 0x3f763a35, v21
	v_add_f32_e32 v61, v64, v61
	v_fmamk_f32 v64, v21, 0xbeb8f4ab, v32
	v_fma_f32 v26, 0x3f6eb680, v34, -v62
	v_fmac_f32_e32 v32, 0x3eb8f4ab, v21
	v_sub_f32_e32 v21, v74, v24
	v_fmamk_f32 v24, v65, 0x3ee437d1, v66
	v_mul_f32_e32 v34, 0x3ee437d1, v25
	v_add_f32_e32 v62, v64, v63
	v_add_f32_e32 v26, v26, v33
	;; [unrolled: 1-line block ×4, first 2 shown]
	v_fmamk_f32 v33, v21, 0x3f65296c, v34
	v_mul_f32_e32 v35, 0xbf4c4adb, v59
	v_fma_f32 v37, 0x3ee437d1, v65, -v66
	v_fmac_f32_e32 v34, 0xbf65296c, v21
	v_mul_f32_e32 v63, 0xbf1a4643, v25
	v_add_f32_e32 v31, v33, v31
	v_fmamk_f32 v33, v65, 0xbf1a4643, v35
	v_add_f32_e32 v36, v37, v36
	v_add_f32_e32 v28, v34, v28
	v_fmamk_f32 v34, v21, 0x3f4c4adb, v63
	v_mul_f32_e32 v37, 0x3e3c28d5, v59
	v_fma_f32 v35, 0xbf1a4643, v65, -v35
	v_fmac_f32_e32 v63, 0xbf4c4adb, v21
	v_add_f32_e32 v33, v33, v38
	v_add_f32_e32 v34, v34, v41
	v_fmamk_f32 v38, v65, 0xbf7ba420, v37
	v_mul_f32_e32 v41, 0xbf7ba420, v25
	v_add_f32_e32 v30, v35, v30
	v_add_f32_e32 v35, v63, v39
	v_mul_f32_e32 v39, 0x3f763a35, v59
	v_add_f32_e32 v38, v38, v43
	v_fmamk_f32 v43, v21, 0xbe3c28d5, v41
	v_fma_f32 v37, 0xbf7ba420, v65, -v37
	v_fmac_f32_e32 v41, 0x3e3c28d5, v21
	v_fmamk_f32 v63, v65, 0xbe8c1d8e, v39
	v_mul_f32_e32 v64, 0xbe8c1d8e, v25
	v_fma_f32 v39, 0xbe8c1d8e, v65, -v39
	v_add_f32_e32 v29, v37, v29
	v_add_f32_e32 v37, v41, v40
	;; [unrolled: 1-line block ×3, first 2 shown]
	v_fmamk_f32 v41, v21, 0xbf763a35, v64
	v_fmac_f32_e32 v64, 0x3f763a35, v21
	v_mul_f32_e32 v47, 0x3f3d2fb0, v25
	v_add_f32_e32 v43, v43, v44
	v_mul_f32_e32 v44, 0x3f2c7751, v59
	v_add_f32_e32 v39, v39, v45
	v_add_f32_e32 v45, v64, v46
	v_fmamk_f32 v46, v21, 0xbf2c7751, v47
	v_add_f32_e32 v54, v54, v70
	v_add_f32_e32 v41, v41, v42
	v_fmamk_f32 v42, v65, 0x3f3d2fb0, v44
	v_mul_f32_e32 v63, 0xbeb8f4ab, v59
	v_fma_f32 v44, 0x3f3d2fb0, v65, -v44
	v_fmac_f32_e32 v47, 0x3f2c7751, v21
	v_add_f32_e32 v46, v46, v50
	v_mul_f32_e32 v50, 0x3f6eb680, v25
	v_add_f32_e32 v54, v68, v54
	v_add_f32_e32 v42, v42, v49
	v_fmamk_f32 v49, v65, 0x3f6eb680, v63
	v_add_f32_e32 v44, v44, v48
	v_add_f32_e32 v47, v47, v51
	v_mul_f32_e32 v48, 0xbf7ee86f, v59
	v_fmamk_f32 v51, v21, 0x3eb8f4ab, v50
	v_fmac_f32_e32 v50, 0xbeb8f4ab, v21
	v_mul_f32_e32 v64, 0x3dbcf732, v25
	v_add_f32_e32 v49, v49, v53
	v_fma_f32 v53, 0x3f6eb680, v65, -v63
	v_fmamk_f32 v63, v65, 0x3dbcf732, v48
	v_add_f32_e32 v50, v50, v54
	v_fmamk_f32 v54, v21, 0x3f7ee86f, v64
	v_fma_f32 v48, 0x3dbcf732, v65, -v48
	v_fmac_f32_e32 v64, 0xbf7ee86f, v21
	v_add_f32_e32 v51, v51, v55
	v_mul_f32_e32 v55, 0xbf06c442, v59
	v_mul_f32_e32 v25, 0xbf59a7d5, v25
	v_add_f32_e32 v48, v48, v57
	v_add_f32_e32 v57, v64, v58
	v_sub_f32_e32 v58, v20, v23
	v_add_f32_e32 v20, v20, v23
	v_add_f32_e32 v52, v53, v52
	;; [unrolled: 1-line block ×4, first 2 shown]
	v_fmamk_f32 v56, v65, 0xbf59a7d5, v55
	v_fmamk_f32 v59, v21, 0x3f06c442, v25
	v_add_f32_e32 v60, v19, v22
	v_mul_f32_e32 v23, 0xbf7ee86f, v58
	v_fma_f32 v55, 0xbf59a7d5, v65, -v55
	v_fmac_f32_e32 v25, 0xbf06c442, v21
	v_sub_f32_e32 v19, v19, v22
	v_mul_f32_e32 v21, 0x3dbcf732, v20
	v_fmamk_f32 v22, v60, 0x3dbcf732, v23
	v_add_f32_e32 v26, v55, v26
	v_add_f32_e32 v25, v25, v32
	v_mul_f32_e32 v32, 0xbe3c28d5, v58
	v_fmamk_f32 v55, v19, 0x3f7ee86f, v21
	v_add_f32_e32 v22, v22, v24
	v_fma_f32 v23, 0x3dbcf732, v60, -v23
	v_fmac_f32_e32 v21, 0xbf7ee86f, v19
	v_fmamk_f32 v24, v60, 0xbf7ba420, v32
	v_add_f32_e32 v31, v55, v31
	v_mul_f32_e32 v55, 0xbf7ba420, v20
	v_add_f32_e32 v23, v23, v36
	v_add_f32_e32 v21, v21, v28
	;; [unrolled: 1-line block ×3, first 2 shown]
	v_mul_f32_e32 v28, 0x3f763a35, v58
	v_fmamk_f32 v33, v19, 0x3e3c28d5, v55
	v_mul_f32_e32 v36, 0xbe8c1d8e, v20
	v_add_f32_e32 v56, v56, v61
	v_fma_f32 v32, 0xbf7ba420, v60, -v32
	v_fmac_f32_e32 v55, 0xbe3c28d5, v19
	v_fmamk_f32 v61, v60, 0xbe8c1d8e, v28
	v_add_f32_e32 v33, v33, v34
	v_fmamk_f32 v34, v19, 0xbf763a35, v36
	v_add_f32_e32 v30, v32, v30
	v_add_f32_e32 v32, v55, v35
	;; [unrolled: 1-line block ×3, first 2 shown]
	v_mul_f32_e32 v38, 0x3eb8f4ab, v58
	v_fma_f32 v28, 0xbe8c1d8e, v60, -v28
	v_fmac_f32_e32 v36, 0x3f763a35, v19
	v_add_f32_e32 v34, v34, v43
	v_mul_f32_e32 v43, 0x3f6eb680, v20
	v_fmamk_f32 v55, v60, 0x3f6eb680, v38
	v_add_f32_e32 v28, v28, v29
	v_add_f32_e32 v29, v36, v37
	v_mul_f32_e32 v36, 0xbf65296c, v58
	v_fmamk_f32 v37, v19, 0xbeb8f4ab, v43
	v_add_f32_e32 v40, v55, v40
	v_fma_f32 v38, 0x3f6eb680, v60, -v38
	v_fmac_f32_e32 v43, 0x3eb8f4ab, v19
	v_fmamk_f32 v55, v60, 0x3ee437d1, v36
	v_add_f32_e32 v37, v37, v41
	v_mul_f32_e32 v41, 0x3ee437d1, v20
	v_add_f32_e32 v38, v38, v39
	v_add_f32_e32 v39, v43, v45
	;; [unrolled: 1-line block ×3, first 2 shown]
	v_mul_f32_e32 v43, 0xbf06c442, v58
	v_fmamk_f32 v45, v19, 0x3f65296c, v41
	v_fma_f32 v36, 0x3ee437d1, v60, -v36
	v_fmac_f32_e32 v41, 0xbf65296c, v19
	v_mul_f32_e32 v55, 0xbf59a7d5, v20
	v_fmamk_f32 v61, v60, 0xbf59a7d5, v43
	v_fma_f32 v43, 0xbf59a7d5, v60, -v43
	v_add_f32_e32 v36, v36, v44
	v_add_f32_e32 v41, v41, v47
	v_fmamk_f32 v44, v19, 0x3f06c442, v55
	v_mul_f32_e32 v47, 0x3f4c4adb, v58
	v_add_f32_e32 v45, v45, v46
	v_add_f32_e32 v46, v61, v49
	v_fmac_f32_e32 v55, 0xbf06c442, v19
	v_add_f32_e32 v44, v44, v51
	v_mul_f32_e32 v49, 0xbf1a4643, v20
	v_fmamk_f32 v51, v60, 0xbf1a4643, v47
	v_add_f32_e32 v43, v43, v52
	v_mul_f32_e32 v52, 0x3f2c7751, v58
	v_add_f32_e32 v50, v55, v50
	v_fmamk_f32 v55, v19, 0xbf4c4adb, v49
	v_add_f32_e32 v51, v51, v53
	v_fma_f32 v47, 0xbf1a4643, v60, -v47
	v_fmac_f32_e32 v49, 0x3f4c4adb, v19
	v_fmamk_f32 v53, v60, 0x3f3d2fb0, v52
	v_mul_f32_e32 v20, 0x3f3d2fb0, v20
	v_add_f32_e32 v59, v59, v62
	v_add_f32_e32 v47, v47, v48
	;; [unrolled: 1-line block ×4, first 2 shown]
	v_sub_f32_e32 v53, v16, v18
	v_add_f32_e32 v16, v16, v18
	v_add_f32_e32 v54, v55, v54
	v_fmamk_f32 v55, v19, 0xbf2c7751, v20
	v_fma_f32 v52, 0x3f3d2fb0, v60, -v52
	v_add_f32_e32 v18, v15, v17
	v_mul_f32_e32 v56, 0xbf763a35, v53
	v_fmac_f32_e32 v20, 0x3f2c7751, v19
	v_sub_f32_e32 v15, v15, v17
	v_mul_f32_e32 v17, 0xbe8c1d8e, v16
	v_add_f32_e32 v19, v55, v59
	v_fmamk_f32 v55, v18, 0xbe8c1d8e, v56
	v_add_f32_e32 v26, v52, v26
	v_add_f32_e32 v20, v20, v25
	v_fmamk_f32 v25, v15, 0x3f763a35, v17
	v_mul_f32_e32 v52, 0x3f06c442, v53
	v_fmac_f32_e32 v17, 0xbf763a35, v15
	v_add_f32_e32 v22, v55, v22
	v_fma_f32 v55, 0xbe8c1d8e, v18, -v56
	v_add_f32_e32 v25, v25, v31
	v_fmamk_f32 v31, v18, 0xbf59a7d5, v52
	v_mul_f32_e32 v56, 0xbf59a7d5, v16
	v_add_f32_e32 v17, v17, v21
	v_mul_f32_e32 v21, 0x3f2c7751, v53
	v_add_f32_e32 v23, v55, v23
	v_add_f32_e32 v24, v31, v24
	v_fmamk_f32 v31, v15, 0xbf06c442, v56
	v_fma_f32 v52, 0xbf59a7d5, v18, -v52
	v_fmamk_f32 v55, v18, 0x3f3d2fb0, v21
	v_mul_f32_e32 v57, 0x3f3d2fb0, v16
	v_fmac_f32_e32 v56, 0x3f06c442, v15
	v_add_f32_e32 v31, v31, v33
	v_add_f32_e32 v30, v52, v30
	;; [unrolled: 1-line block ×3, first 2 shown]
	v_fmamk_f32 v35, v15, 0xbf2c7751, v57
	v_mul_f32_e32 v52, 0xbf65296c, v53
	v_fma_f32 v21, 0x3f3d2fb0, v18, -v21
	v_fmac_f32_e32 v57, 0x3f2c7751, v15
	v_mul_f32_e32 v55, 0x3ee437d1, v16
	v_add_f32_e32 v34, v35, v34
	v_fmamk_f32 v35, v18, 0x3ee437d1, v52
	v_add_f32_e32 v32, v56, v32
	v_add_f32_e32 v21, v21, v28
	;; [unrolled: 1-line block ×3, first 2 shown]
	v_fmamk_f32 v29, v15, 0x3f65296c, v55
	v_mul_f32_e32 v56, 0xbe3c28d5, v53
	v_add_f32_e32 v35, v35, v40
	v_fma_f32 v40, 0x3ee437d1, v18, -v52
	v_fmac_f32_e32 v55, 0xbf65296c, v15
	v_add_f32_e32 v29, v29, v37
	v_fmamk_f32 v37, v18, 0xbf7ba420, v56
	v_mul_f32_e32 v52, 0xbf7ba420, v16
	v_add_f32_e32 v38, v40, v38
	v_mul_f32_e32 v40, 0x3f7ee86f, v53
	v_add_f32_e32 v39, v55, v39
	v_add_f32_e32 v37, v37, v42
	v_fmamk_f32 v42, v15, 0x3e3c28d5, v52
	v_fma_f32 v55, 0xbf7ba420, v18, -v56
	v_fmac_f32_e32 v52, 0xbe3c28d5, v15
	v_fmamk_f32 v56, v18, 0x3dbcf732, v40
	v_mul_f32_e32 v57, 0x3dbcf732, v16
	v_add_f32_e32 v42, v42, v45
	v_add_f32_e32 v36, v55, v36
	v_add_f32_e32 v41, v52, v41
	v_add_f32_e32 v45, v56, v46
	v_fmamk_f32 v46, v15, 0xbf7ee86f, v57
	v_mul_f32_e32 v52, 0xbeb8f4ab, v53
	v_fma_f32 v40, 0x3dbcf732, v18, -v40
	v_mul_f32_e32 v55, 0x3f6eb680, v16
	v_mul_f32_e32 v53, 0xbf4c4adb, v53
	v_add_f32_e32 v44, v46, v44
	v_fmamk_f32 v46, v18, 0x3f6eb680, v52
	v_add_f32_e32 v40, v40, v43
	v_fmamk_f32 v43, v15, 0x3eb8f4ab, v55
	v_fmac_f32_e32 v55, 0xbeb8f4ab, v15
	v_mul_f32_e32 v16, 0xbf1a4643, v16
	v_add_f32_e32 v46, v46, v51
	v_fma_f32 v51, 0x3f6eb680, v18, -v52
	v_add_f32_e32 v43, v43, v54
	v_fmamk_f32 v52, v18, 0xbf1a4643, v53
	v_add_f32_e32 v48, v55, v48
	v_add_f32_e32 v54, v11, v13
	;; [unrolled: 1-line block ×3, first 2 shown]
	v_sub_f32_e32 v51, v12, v14
	v_add_f32_e32 v12, v12, v14
	v_fmac_f32_e32 v57, 0x3f7ee86f, v15
	v_add_f32_e32 v49, v52, v49
	v_fmamk_f32 v52, v15, 0x3f4c4adb, v16
	v_mul_f32_e32 v55, 0xbf4c4adb, v51
	v_fma_f32 v14, 0xbf1a4643, v18, -v53
	v_fmac_f32_e32 v16, 0xbf4c4adb, v15
	v_sub_f32_e32 v11, v11, v13
	v_mul_f32_e32 v15, 0xbf1a4643, v12
	v_fmamk_f32 v13, v54, 0xbf1a4643, v55
	v_add_f32_e32 v18, v52, v19
	v_add_f32_e32 v14, v14, v26
	;; [unrolled: 1-line block ×3, first 2 shown]
	v_fmamk_f32 v19, v11, 0x3f4c4adb, v15
	v_add_f32_e32 v13, v13, v22
	v_mul_f32_e32 v20, 0x3f763a35, v51
	v_fma_f32 v22, 0xbf1a4643, v54, -v55
	v_fmac_f32_e32 v15, 0xbf4c4adb, v11
	v_mul_f32_e32 v26, 0xbe8c1d8e, v12
	v_add_f32_e32 v19, v19, v25
	v_fmamk_f32 v25, v54, 0xbe8c1d8e, v20
	v_add_f32_e32 v22, v22, v23
	v_add_f32_e32 v15, v15, v17
	v_fmamk_f32 v17, v11, 0xbf763a35, v26
	v_mul_f32_e32 v23, 0xbeb8f4ab, v51
	v_fma_f32 v20, 0xbe8c1d8e, v54, -v20
	v_add_f32_e32 v24, v25, v24
	v_fmac_f32_e32 v26, 0x3f763a35, v11
	v_add_f32_e32 v17, v17, v31
	v_fmamk_f32 v25, v54, 0x3f6eb680, v23
	v_mul_f32_e32 v31, 0x3f6eb680, v12
	v_add_f32_e32 v20, v20, v30
	v_mul_f32_e32 v30, 0xbf06c442, v51
	v_add_f32_e32 v26, v26, v32
	v_add_f32_e32 v25, v25, v33
	v_fmamk_f32 v32, v11, 0x3eb8f4ab, v31
	v_fma_f32 v23, 0x3f6eb680, v54, -v23
	v_fmac_f32_e32 v31, 0xbeb8f4ab, v11
	v_fmamk_f32 v33, v54, 0xbf59a7d5, v30
	v_mul_f32_e32 v52, 0xbf59a7d5, v12
	v_add_f32_e32 v32, v32, v34
	v_add_f32_e32 v21, v23, v21
	;; [unrolled: 1-line block ×4, first 2 shown]
	v_fmamk_f32 v31, v11, 0x3f06c442, v52
	v_mul_f32_e32 v33, 0x3f7ee86f, v51
	v_fma_f32 v30, 0xbf59a7d5, v54, -v30
	v_mul_f32_e32 v34, 0x3dbcf732, v12
	v_fmac_f32_e32 v52, 0xbf06c442, v11
	v_add_f32_e32 v29, v31, v29
	v_fmamk_f32 v31, v54, 0x3dbcf732, v33
	v_add_f32_e32 v30, v30, v38
	v_fmamk_f32 v38, v11, 0xbf7ee86f, v34
	v_add_f32_e32 v35, v52, v39
	v_mul_f32_e32 v39, 0xbf2c7751, v51
	v_add_f32_e32 v31, v31, v37
	v_fma_f32 v33, 0x3dbcf732, v54, -v33
	v_fmac_f32_e32 v34, 0x3f7ee86f, v11
	v_add_f32_e32 v37, v38, v42
	v_mul_f32_e32 v42, 0x3f3d2fb0, v12
	v_fmamk_f32 v38, v54, 0x3f3d2fb0, v39
	v_add_f32_e32 v33, v33, v36
	v_add_f32_e32 v34, v34, v41
	v_mul_f32_e32 v36, 0xbe3c28d5, v51
	v_fmamk_f32 v41, v11, 0x3f2c7751, v42
	v_mul_f32_e32 v52, 0xbf7ba420, v12
	v_add_f32_e32 v50, v57, v50
	v_add_f32_e32 v38, v38, v45
	v_fma_f32 v39, 0x3f3d2fb0, v54, -v39
	v_fmac_f32_e32 v42, 0xbf2c7751, v11
	v_fmamk_f32 v45, v54, 0xbf7ba420, v36
	v_add_f32_e32 v41, v41, v44
	v_fmamk_f32 v44, v11, 0x3e3c28d5, v52
	v_mul_f32_e32 v12, 0x3ee437d1, v12
	v_fma_f32 v36, 0xbf7ba420, v54, -v36
	v_fmac_f32_e32 v52, 0xbe3c28d5, v11
	v_add_f32_e32 v39, v39, v40
	v_add_f32_e32 v40, v42, v50
	;; [unrolled: 1-line block ×3, first 2 shown]
	v_mul_f32_e32 v45, 0x3f65296c, v51
	v_fmamk_f32 v46, v11, 0xbf65296c, v12
	v_add_f32_e32 v36, v36, v47
	v_add_f32_e32 v47, v52, v48
	v_sub_f32_e32 v48, v8, v10
	v_add_f32_e32 v8, v8, v10
	v_add_f32_e32 v43, v44, v43
	v_fmamk_f32 v44, v54, 0x3ee437d1, v45
	v_add_f32_e32 v18, v46, v18
	v_add_f32_e32 v46, v7, v9
	v_mul_f32_e32 v10, 0xbf06c442, v48
	v_fma_f32 v45, 0x3ee437d1, v54, -v45
	v_fmac_f32_e32 v12, 0x3f65296c, v11
	v_sub_f32_e32 v7, v7, v9
	v_mul_f32_e32 v9, 0xbf59a7d5, v8
	v_fmamk_f32 v11, v46, 0xbf59a7d5, v10
	v_add_f32_e32 v14, v45, v14
	v_add_f32_e32 v12, v12, v16
	v_mul_f32_e32 v16, 0x3f65296c, v48
	v_fmamk_f32 v45, v7, 0x3f06c442, v9
	v_add_f32_e32 v11, v11, v13
	v_fma_f32 v10, 0xbf59a7d5, v46, -v10
	v_fmac_f32_e32 v9, 0xbf06c442, v7
	v_fmamk_f32 v13, v46, 0x3ee437d1, v16
	v_add_f32_e32 v19, v45, v19
	v_mul_f32_e32 v45, 0x3ee437d1, v8
	v_add_f32_e32 v10, v10, v22
	v_add_f32_e32 v9, v9, v15
	;; [unrolled: 1-line block ×3, first 2 shown]
	v_mul_f32_e32 v24, 0x3dbcf732, v8
	v_fmamk_f32 v22, v7, 0xbf65296c, v45
	v_mul_f32_e32 v15, 0xbf7ee86f, v48
	v_fma_f32 v16, 0x3ee437d1, v46, -v16
	v_fmac_f32_e32 v45, 0x3f65296c, v7
	v_add_f32_e32 v44, v44, v49
	v_add_f32_e32 v17, v22, v17
	v_fmamk_f32 v22, v7, 0x3f7ee86f, v24
	v_fmamk_f32 v49, v46, 0x3dbcf732, v15
	v_add_f32_e32 v16, v16, v20
	v_add_f32_e32 v20, v45, v26
	v_mul_f32_e32 v26, 0x3f4c4adb, v48
	v_fma_f32 v15, 0x3dbcf732, v46, -v15
	v_fmac_f32_e32 v24, 0xbf7ee86f, v7
	v_add_f32_e32 v22, v22, v32
	v_mul_f32_e32 v32, 0xbf1a4643, v8
	v_fmamk_f32 v45, v46, 0xbf1a4643, v26
	v_add_f32_e32 v15, v15, v21
	v_add_f32_e32 v21, v24, v23
	v_mul_f32_e32 v23, 0xbeb8f4ab, v48
	v_fmamk_f32 v24, v7, 0xbf4c4adb, v32
	v_add_f32_e32 v28, v45, v28
	v_fma_f32 v26, 0xbf1a4643, v46, -v26
	v_fmac_f32_e32 v32, 0x3f4c4adb, v7
	v_fmamk_f32 v45, v46, 0x3f6eb680, v23
	v_add_f32_e32 v24, v24, v29
	v_mul_f32_e32 v29, 0x3f6eb680, v8
	v_add_f32_e32 v26, v26, v30
	v_add_f32_e32 v30, v32, v35
	;; [unrolled: 1-line block ×3, first 2 shown]
	v_mul_f32_e32 v32, 0xbe3c28d5, v48
	v_fmamk_f32 v35, v7, 0x3eb8f4ab, v29
	v_fma_f32 v23, 0x3f6eb680, v46, -v23
	v_mul_f32_e32 v45, 0xbf7ba420, v8
	v_add_f32_e32 v25, v49, v25
	v_fmac_f32_e32 v29, 0xbeb8f4ab, v7
	v_fmamk_f32 v49, v46, 0xbf7ba420, v32
	v_add_f32_e32 v35, v35, v37
	v_add_f32_e32 v23, v23, v33
	v_fmamk_f32 v33, v7, 0x3e3c28d5, v45
	v_mul_f32_e32 v37, 0x3f2c7751, v48
	v_fma_f32 v32, 0xbf7ba420, v46, -v32
	v_fmac_f32_e32 v45, 0xbe3c28d5, v7
	v_add_f32_e32 v29, v29, v34
	v_add_f32_e32 v34, v49, v38
	;; [unrolled: 1-line block ×3, first 2 shown]
	v_mul_f32_e32 v38, 0x3f3d2fb0, v8
	v_fmamk_f32 v41, v46, 0x3f3d2fb0, v37
	v_add_f32_e32 v32, v32, v39
	v_add_f32_e32 v39, v45, v40
	v_mul_f32_e32 v40, 0xbf763a35, v48
	v_fmamk_f32 v45, v7, 0xbf2c7751, v38
	v_add_f32_e32 v41, v41, v42
	v_fma_f32 v37, 0x3f3d2fb0, v46, -v37
	v_fmac_f32_e32 v38, 0x3f2c7751, v7
	v_fmamk_f32 v42, v46, 0xbe8c1d8e, v40
	v_mul_f32_e32 v8, 0xbe8c1d8e, v8
	v_add_f32_e32 v43, v45, v43
	v_add_f32_e32 v36, v37, v36
	;; [unrolled: 1-line block ×4, first 2 shown]
	v_sub_f32_e32 v42, v5, v6
	v_fmamk_f32 v44, v7, 0x3f763a35, v8
	v_fma_f32 v40, 0xbe8c1d8e, v46, -v40
	v_add_f32_e32 v45, v5, v6
	v_add_f32_e32 v46, v3, v4
	v_mul_f32_e32 v5, 0xbe3c28d5, v42
	v_fmac_f32_e32 v8, 0xbf763a35, v7
	v_sub_f32_e32 v7, v3, v4
	v_mul_f32_e32 v6, 0xbf7ba420, v45
	v_add_f32_e32 v44, v44, v18
	v_fmamk_f32 v3, v46, 0xbf7ba420, v5
	v_add_f32_e32 v47, v8, v12
	v_mul_f32_e32 v12, 0x3eb8f4ab, v42
	v_add_f32_e32 v40, v40, v14
	v_fmamk_f32 v4, v7, 0x3e3c28d5, v6
	v_add_f32_e32 v3, v3, v11
	v_fma_f32 v5, 0xbf7ba420, v46, -v5
	v_fmac_f32_e32 v6, 0xbe3c28d5, v7
	v_fmamk_f32 v8, v46, 0x3f6eb680, v12
	v_mul_f32_e32 v11, 0x3f6eb680, v45
	v_mul_f32_e32 v14, 0xbf06c442, v42
	;; [unrolled: 1-line block ×3, first 2 shown]
	v_add_f32_e32 v4, v4, v19
	v_add_f32_e32 v5, v5, v10
	;; [unrolled: 1-line block ×4, first 2 shown]
	v_fmamk_f32 v9, v7, 0xbeb8f4ab, v11
	v_fma_f32 v10, 0x3f6eb680, v46, -v12
	v_fmamk_f32 v12, v46, 0xbf59a7d5, v14
	v_fmamk_f32 v13, v7, 0x3f06c442, v18
	v_fma_f32 v14, 0xbf59a7d5, v46, -v14
	v_fmac_f32_e32 v18, 0xbf06c442, v7
	v_mul_f32_e32 v19, 0x3f3d2fb0, v45
	v_fmac_f32_e32 v11, 0x3eb8f4ab, v7
	v_add_f32_e32 v9, v9, v17
	v_mul_f32_e32 v17, 0x3f2c7751, v42
	v_add_f32_e32 v14, v14, v15
	v_add_f32_e32 v15, v18, v21
	v_fmamk_f32 v18, v7, 0xbf2c7751, v19
	v_mul_f32_e32 v21, 0xbf4c4adb, v42
	v_add_f32_e32 v10, v10, v16
	v_add_f32_e32 v11, v11, v20
	v_add_f32_e32 v13, v13, v22
	v_fmamk_f32 v16, v46, 0x3f3d2fb0, v17
	v_fma_f32 v20, 0x3f3d2fb0, v46, -v17
	v_fmac_f32_e32 v19, 0x3f2c7751, v7
	v_add_f32_e32 v17, v18, v24
	v_fmamk_f32 v22, v46, 0xbf1a4643, v21
	v_mul_f32_e32 v24, 0xbf1a4643, v45
	v_add_f32_e32 v12, v12, v25
	v_mul_f32_e32 v25, 0x3f65296c, v42
	v_add_f32_e32 v18, v20, v26
	v_add_f32_e32 v19, v19, v30
	;; [unrolled: 1-line block ×3, first 2 shown]
	v_fmamk_f32 v22, v7, 0x3f4c4adb, v24
	v_fma_f32 v26, 0xbf1a4643, v46, -v21
	v_mul_f32_e32 v30, 0x3ee437d1, v45
	v_add_f32_e32 v16, v16, v28
	v_fmac_f32_e32 v24, 0xbf4c4adb, v7
	v_fmamk_f32 v28, v46, 0x3ee437d1, v25
	v_add_f32_e32 v21, v22, v35
	v_add_f32_e32 v22, v26, v23
	v_fmamk_f32 v26, v7, 0xbf65296c, v30
	v_mul_f32_e32 v31, 0xbf763a35, v42
	v_add_f32_e32 v23, v24, v29
	v_add_f32_e32 v24, v28, v34
	v_fma_f32 v28, 0x3ee437d1, v46, -v25
	v_fmac_f32_e32 v30, 0x3f65296c, v7
	v_mul_f32_e32 v34, 0xbe8c1d8e, v45
	v_add_f32_e32 v25, v26, v33
	v_fmamk_f32 v26, v46, 0xbe8c1d8e, v31
	v_add_f32_e32 v28, v28, v32
	v_add_f32_e32 v29, v30, v39
	v_fmamk_f32 v32, v7, 0x3f763a35, v34
	v_fma_f32 v33, 0xbe8c1d8e, v46, -v31
	v_mul_f32_e32 v39, 0x3dbcf732, v45
	v_add_f32_e32 v30, v26, v41
	v_mul_f32_e32 v26, 0x3f7ee86f, v42
	v_add_f32_e32 v31, v32, v43
	v_add_f32_e32 v32, v33, v36
	v_fmac_f32_e32 v34, 0xbf763a35, v7
	v_fmamk_f32 v36, v7, 0xbf7ee86f, v39
	v_fmac_f32_e32 v39, 0x3f7ee86f, v7
	v_mul_hi_u32 v7, 0x24924925, v0
	v_fmamk_f32 v35, v46, 0x3dbcf732, v26
	v_fma_f32 v26, 0x3dbcf732, v46, -v26
	v_add_f32_e32 v33, v34, v37
	v_add_f32_e32 v37, v39, v47
	;; [unrolled: 1-line block ×5, first 2 shown]
	ds_write2_b64 v27, v[1:2], v[3:4] offset1:17
	ds_write2_b64 v27, v[8:9], v[12:13] offset0:34 offset1:51
	ds_write2_b64 v27, v[16:17], v[20:21] offset0:68 offset1:85
	ds_write2_b64 v27, v[24:25], v[30:31] offset0:102 offset1:119
	ds_write2_b64 v27, v[34:35], v[36:37] offset0:136 offset1:153
	ds_write2_b64 v27, v[32:33], v[28:29] offset0:170 offset1:187
	v_mul_u32_u24_e32 v1, 7, v7
	ds_write2_b64 v27, v[22:23], v[18:19] offset0:204 offset1:221
	ds_write2_b64 v27, v[14:15], v[10:11] offset0:238 offset1:255
	ds_write_b64 v27, v[5:6] offset:2176
	s_waitcnt lgkmcnt(0)
	s_barrier
	buffer_gl0_inv
	v_sub_nc_u32_e32 v8, v0, v1
	s_cbranch_vccnz .LBB0_10
; %bb.7:
	v_mad_u64_u32 v[4:5], null, s12, v8, 0
	v_mul_lo_u32 v1, v7, s2
	v_mov_b32_e32 v2, 0
	s_mul_i32 s9, s2, 17
	s_lshl_b64 s[10:11], s[6:7], 3
	s_mov_b32 s3, 0
	s_add_u32 s8, s4, s10
	v_mov_b32_e32 v3, v5
	s_addc_u32 s10, s5, s11
	v_lshlrev_b64 v[19:20], 3, v[1:2]
	v_add_nc_u32_e32 v1, s9, v1
	v_mad_u64_u32 v[5:6], null, s13, v8, v[3:4]
	v_mul_i32_i24_e32 v3, 0x910, v8
	v_lshlrev_b32_e32 v6, 3, v7
	v_lshlrev_b64 v[21:22], 3, v[1:2]
	v_add_nc_u32_e32 v1, s9, v1
	v_add3_u32 v3, 0, v3, v6
	v_lshlrev_b64 v[4:5], 3, v[4:5]
	v_lshlrev_b64 v[23:24], 3, v[1:2]
	v_add_nc_u32_e32 v1, s9, v1
	ds_read2_b64 v[11:14], v3 offset1:17
	ds_read2_b64 v[15:18], v3 offset0:34 offset1:51
	v_add_co_u32 v9, vcc_lo, s8, v4
	v_add_co_ci_u32_e32 v10, vcc_lo, s10, v5, vcc_lo
	v_lshlrev_b64 v[27:28], 3, v[1:2]
	v_add_co_u32 v4, vcc_lo, v9, v19
	v_add_co_ci_u32_e32 v5, vcc_lo, v10, v20, vcc_lo
	v_add_co_u32 v25, vcc_lo, v9, v21
	v_add_co_ci_u32_e32 v26, vcc_lo, v10, v22, vcc_lo
	ds_read2_b64 v[19:22], v3 offset0:68 offset1:85
	v_add_nc_u32_e32 v1, s9, v1
	s_mov_b32 s8, 0
	s_waitcnt lgkmcnt(2)
	global_store_dwordx2 v[4:5], v[11:12], off
	global_store_dwordx2 v[25:26], v[13:14], off
	v_add_co_u32 v4, vcc_lo, v9, v23
	v_lshlrev_b64 v[11:12], 3, v[1:2]
	v_add_co_ci_u32_e32 v5, vcc_lo, v10, v24, vcc_lo
	v_add_co_u32 v13, vcc_lo, v9, v27
	v_add_co_ci_u32_e32 v14, vcc_lo, v10, v28, vcc_lo
	v_add_nc_u32_e32 v1, s9, v1
	v_add_co_u32 v11, vcc_lo, v9, v11
	v_add_co_ci_u32_e32 v12, vcc_lo, v10, v12, vcc_lo
	v_lshlrev_b64 v[23:24], 3, v[1:2]
	v_add_nc_u32_e32 v1, s9, v1
	s_waitcnt lgkmcnt(1)
	global_store_dwordx2 v[4:5], v[15:16], off
	global_store_dwordx2 v[13:14], v[17:18], off
	s_waitcnt lgkmcnt(0)
	global_store_dwordx2 v[11:12], v[19:20], off
	ds_read2_b64 v[11:14], v3 offset0:102 offset1:119
	s_mov_b32 s10, exec_lo
	v_lshlrev_b64 v[4:5], 3, v[1:2]
	v_add_nc_u32_e32 v1, s9, v1
	v_add_co_u32 v15, vcc_lo, v9, v23
	v_add_co_ci_u32_e32 v16, vcc_lo, v10, v24, vcc_lo
	v_lshlrev_b64 v[17:18], 3, v[1:2]
	v_add_nc_u32_e32 v1, s9, v1
	v_add_co_u32 v4, vcc_lo, v9, v4
	v_add_co_ci_u32_e32 v5, vcc_lo, v10, v5, vcc_lo
	v_add_co_u32 v17, vcc_lo, v9, v17
	v_lshlrev_b64 v[19:20], 3, v[1:2]
	v_add_nc_u32_e32 v1, s9, v1
	v_add_co_ci_u32_e32 v18, vcc_lo, v10, v18, vcc_lo
	global_store_dwordx2 v[15:16], v[21:22], off
	s_waitcnt lgkmcnt(0)
	global_store_dwordx2 v[4:5], v[11:12], off
	global_store_dwordx2 v[17:18], v[13:14], off
	v_lshlrev_b64 v[4:5], 3, v[1:2]
	v_add_nc_u32_e32 v1, s9, v1
	v_add_co_u32 v23, vcc_lo, v9, v19
	v_add_co_ci_u32_e32 v24, vcc_lo, v10, v20, vcc_lo
	v_lshlrev_b64 v[19:20], 3, v[1:2]
	v_add_nc_u32_e32 v1, s9, v1
	ds_read2_b64 v[11:14], v3 offset0:136 offset1:153
	ds_read2_b64 v[15:18], v3 offset0:170 offset1:187
	v_add_co_u32 v4, vcc_lo, v9, v4
	v_lshlrev_b64 v[21:22], 3, v[1:2]
	v_add_co_ci_u32_e32 v5, vcc_lo, v10, v5, vcc_lo
	v_add_co_u32 v25, vcc_lo, v9, v19
	v_add_co_ci_u32_e32 v26, vcc_lo, v10, v20, vcc_lo
	v_add_nc_u32_e32 v1, s9, v1
	v_add_co_u32 v27, vcc_lo, v9, v21
	v_add_co_ci_u32_e32 v28, vcc_lo, v10, v22, vcc_lo
	ds_read2_b64 v[19:22], v3 offset0:204 offset1:221
	v_lshlrev_b64 v[29:30], 3, v[1:2]
	v_add_nc_u32_e32 v1, s9, v1
	s_waitcnt lgkmcnt(2)
	global_store_dwordx2 v[23:24], v[11:12], off
	global_store_dwordx2 v[4:5], v[13:14], off
	s_waitcnt lgkmcnt(1)
	global_store_dwordx2 v[25:26], v[15:16], off
	global_store_dwordx2 v[27:28], v[17:18], off
	ds_read2_b64 v[11:14], v3 offset0:238 offset1:255
	v_lshlrev_b64 v[4:5], 3, v[1:2]
	v_add_co_u32 v15, vcc_lo, v9, v29
	v_add_co_ci_u32_e32 v16, vcc_lo, v10, v30, vcc_lo
	v_add_nc_u32_e32 v1, s9, v1
	v_add_co_u32 v4, vcc_lo, v9, v4
	v_add_co_ci_u32_e32 v5, vcc_lo, v10, v5, vcc_lo
	v_lshlrev_b64 v[17:18], 3, v[1:2]
	v_add_nc_u32_e32 v1, s9, v1
	s_waitcnt lgkmcnt(1)
	global_store_dwordx2 v[15:16], v[19:20], off
	global_store_dwordx2 v[4:5], v[21:22], off
	ds_read_b64 v[4:5], v3 offset:2176
	v_lshlrev_b64 v[15:16], 3, v[1:2]
	v_add_nc_u32_e32 v1, s9, v1
	v_add_co_u32 v17, vcc_lo, v9, v17
	v_add_co_ci_u32_e32 v18, vcc_lo, v10, v18, vcc_lo
	v_lshlrev_b64 v[19:20], 3, v[1:2]
	v_add_co_u32 v15, vcc_lo, v9, v15
	v_add_co_ci_u32_e32 v16, vcc_lo, v10, v16, vcc_lo
	s_waitcnt lgkmcnt(1)
	global_store_dwordx2 v[17:18], v[11:12], off
	global_store_dwordx2 v[15:16], v[13:14], off
	v_add_co_u32 v19, vcc_lo, v9, v19
	v_add_co_ci_u32_e32 v20, vcc_lo, v10, v20, vcc_lo
	s_waitcnt lgkmcnt(0)
	global_store_dwordx2 v[19:20], v[4:5], off
                                        ; implicit-def: $vgpr4
                                        ; implicit-def: $vgpr5_vgpr6
	v_cmpx_gt_u32_e32 7, v0
	s_cbranch_execz .LBB0_9
; %bb.8:
	ds_read_b64 v[3:4], v3 offset:2312
	v_add_nc_u32_e32 v1, s9, v1
	s_mov_b32 s8, exec_lo
	v_lshlrev_b64 v[1:2], 3, v[1:2]
	v_add_co_u32 v5, vcc_lo, v9, v1
	v_add_co_ci_u32_e32 v6, vcc_lo, v10, v2, vcc_lo
	s_waitcnt lgkmcnt(0)
	global_store_dword v[5:6], v3, off
.LBB0_9:
	s_or_b32 exec_lo, exec_lo, s10
	s_and_b32 vcc_lo, exec_lo, s3
	s_cbranch_vccnz .LBB0_11
	s_branch .LBB0_16
.LBB0_10:
                                        ; implicit-def: $vgpr4
                                        ; implicit-def: $vgpr5_vgpr6
	s_cbranch_execz .LBB0_16
.LBB0_11:
	v_add_nc_u32_e32 v1, s1, v8
	s_mov_b32 s1, exec_lo
                                        ; implicit-def: $vgpr4
                                        ; implicit-def: $vgpr5_vgpr6
	v_cmpx_gt_u32_e64 s0, v1
	s_cbranch_execz .LBB0_15
; %bb.12:
	v_mad_u64_u32 v[4:5], null, s12, v8, 0
	v_mul_lo_u32 v1, v7, s2
	v_mov_b32_e32 v2, 0
	s_mul_i32 s2, s2, 17
	s_lshl_b64 s[6:7], s[6:7], 3
	s_add_u32 s3, s4, s6
	v_mov_b32_e32 v3, v5
	s_addc_u32 s4, s5, s7
	v_lshlrev_b64 v[17:18], 3, v[1:2]
	v_add_nc_u32_e32 v1, s2, v1
	v_mad_u64_u32 v[5:6], null, s13, v8, v[3:4]
	v_mad_i32_i24 v3, 0x910, v8, 0
	v_lshlrev_b64 v[19:20], 3, v[1:2]
	v_add_nc_u32_e32 v1, s2, v1
	v_lshl_add_u32 v6, v7, 3, v3
	v_lshlrev_b64 v[4:5], 3, v[4:5]
	v_lshlrev_b64 v[21:22], 3, v[1:2]
	v_add_nc_u32_e32 v1, s2, v1
	ds_read2_b64 v[9:12], v6 offset1:17
	ds_read2_b64 v[13:16], v6 offset0:34 offset1:51
	v_add_co_u32 v7, vcc_lo, s3, v4
	v_add_co_ci_u32_e32 v8, vcc_lo, s4, v5, vcc_lo
	v_lshlrev_b64 v[25:26], 3, v[1:2]
	v_add_co_u32 v4, vcc_lo, v7, v17
	v_add_co_ci_u32_e32 v5, vcc_lo, v8, v18, vcc_lo
	v_add_co_u32 v23, vcc_lo, v7, v19
	v_add_co_ci_u32_e32 v24, vcc_lo, v8, v20, vcc_lo
	ds_read2_b64 v[17:20], v6 offset0:68 offset1:85
	v_add_nc_u32_e32 v1, s2, v1
	s_mul_hi_u32 s3, s0, 0x24924925
	s_waitcnt lgkmcnt(2)
	global_store_dwordx2 v[4:5], v[9:10], off
	global_store_dwordx2 v[23:24], v[11:12], off
	v_add_co_u32 v4, vcc_lo, v7, v21
	v_lshlrev_b64 v[9:10], 3, v[1:2]
	v_add_co_ci_u32_e32 v5, vcc_lo, v8, v22, vcc_lo
	v_add_co_u32 v11, vcc_lo, v7, v25
	v_add_co_ci_u32_e32 v12, vcc_lo, v8, v26, vcc_lo
	v_add_nc_u32_e32 v1, s2, v1
	v_add_co_u32 v9, vcc_lo, v7, v9
	v_add_co_ci_u32_e32 v10, vcc_lo, v8, v10, vcc_lo
	v_lshlrev_b64 v[21:22], 3, v[1:2]
	v_add_nc_u32_e32 v1, s2, v1
	s_waitcnt lgkmcnt(1)
	global_store_dwordx2 v[4:5], v[13:14], off
	global_store_dwordx2 v[11:12], v[15:16], off
	s_waitcnt lgkmcnt(0)
	global_store_dwordx2 v[9:10], v[17:18], off
	ds_read2_b64 v[9:12], v6 offset0:102 offset1:119
	s_sub_i32 s4, s0, s3
	v_lshlrev_b64 v[4:5], 3, v[1:2]
	v_add_nc_u32_e32 v1, s2, v1
	v_add_co_u32 v13, vcc_lo, v7, v21
	v_add_co_ci_u32_e32 v14, vcc_lo, v8, v22, vcc_lo
	v_lshlrev_b64 v[15:16], 3, v[1:2]
	v_add_co_u32 v4, vcc_lo, v7, v4
	v_add_co_ci_u32_e32 v5, vcc_lo, v8, v5, vcc_lo
	v_add_nc_u32_e32 v1, s2, v1
	v_add_co_u32 v15, vcc_lo, v7, v15
	v_add_co_ci_u32_e32 v16, vcc_lo, v8, v16, vcc_lo
	v_lshlrev_b64 v[17:18], 3, v[1:2]
	v_add_nc_u32_e32 v1, s2, v1
	global_store_dwordx2 v[13:14], v[19:20], off
	s_waitcnt lgkmcnt(0)
	global_store_dwordx2 v[4:5], v[9:10], off
	global_store_dwordx2 v[15:16], v[11:12], off
	ds_read2_b64 v[9:12], v6 offset0:136 offset1:153
	ds_read2_b64 v[13:16], v6 offset0:170 offset1:187
	s_lshr_b32 s4, s4, 1
	v_lshlrev_b64 v[4:5], 3, v[1:2]
	v_add_nc_u32_e32 v1, s2, v1
	v_add_co_u32 v17, vcc_lo, v7, v17
	v_add_co_ci_u32_e32 v18, vcc_lo, v8, v18, vcc_lo
	v_lshlrev_b64 v[19:20], 3, v[1:2]
	v_add_co_u32 v4, vcc_lo, v7, v4
	v_add_co_ci_u32_e32 v5, vcc_lo, v8, v5, vcc_lo
	v_add_nc_u32_e32 v1, s2, v1
	v_add_co_u32 v19, vcc_lo, v7, v19
	v_add_co_ci_u32_e32 v20, vcc_lo, v8, v20, vcc_lo
	v_lshlrev_b64 v[21:22], 3, v[1:2]
	v_add_nc_u32_e32 v1, s2, v1
	s_waitcnt lgkmcnt(1)
	global_store_dwordx2 v[17:18], v[9:10], off
	global_store_dwordx2 v[4:5], v[11:12], off
	s_waitcnt lgkmcnt(0)
	global_store_dwordx2 v[19:20], v[13:14], off
	ds_read2_b64 v[9:12], v6 offset0:204 offset1:221
	s_add_i32 s4, s4, s3
	v_lshlrev_b64 v[4:5], 3, v[1:2]
	v_add_nc_u32_e32 v1, s2, v1
	v_add_co_u32 v13, vcc_lo, v7, v21
	v_add_co_ci_u32_e32 v14, vcc_lo, v8, v22, vcc_lo
	v_lshlrev_b64 v[17:18], 3, v[1:2]
	v_add_co_u32 v4, vcc_lo, v7, v4
	v_add_nc_u32_e32 v1, s2, v1
	v_add_co_ci_u32_e32 v5, vcc_lo, v8, v5, vcc_lo
	v_add_co_u32 v17, vcc_lo, v7, v17
	v_add_co_ci_u32_e32 v18, vcc_lo, v8, v18, vcc_lo
	global_store_dwordx2 v[13:14], v[15:16], off
	v_lshlrev_b64 v[13:14], 3, v[1:2]
	v_add_nc_u32_e32 v1, s2, v1
	s_waitcnt lgkmcnt(0)
	global_store_dwordx2 v[4:5], v[9:10], off
	global_store_dwordx2 v[17:18], v[11:12], off
	ds_read2_b64 v[9:12], v6 offset0:238 offset1:255
	ds_read_b64 v[15:16], v6 offset:2176
	s_lshr_b32 s3, s4, 2
	v_lshlrev_b64 v[4:5], 3, v[1:2]
	v_add_nc_u32_e32 v1, s2, v1
	v_add_co_u32 v13, vcc_lo, v7, v13
	v_add_co_ci_u32_e32 v14, vcc_lo, v8, v14, vcc_lo
	v_lshlrev_b64 v[17:18], 3, v[1:2]
	v_add_co_u32 v4, vcc_lo, v7, v4
	s_mul_i32 s3, s3, 7
	v_add_co_ci_u32_e32 v5, vcc_lo, v8, v5, vcc_lo
	v_add_co_u32 v17, vcc_lo, v7, v17
	s_sub_i32 s0, s0, s3
	v_add_co_ci_u32_e32 v18, vcc_lo, v8, v18, vcc_lo
	v_cmp_gt_u32_e32 vcc_lo, s0, v0
	s_mov_b32 s3, s8
	s_waitcnt lgkmcnt(1)
	global_store_dwordx2 v[13:14], v[9:10], off
	global_store_dwordx2 v[4:5], v[11:12], off
	s_waitcnt lgkmcnt(0)
	global_store_dwordx2 v[17:18], v[15:16], off
                                        ; implicit-def: $vgpr4
                                        ; implicit-def: $vgpr5_vgpr6
	s_and_saveexec_b32 s0, vcc_lo
	s_cbranch_execz .LBB0_14
; %bb.13:
	ds_read_b64 v[3:4], v3 offset:2312
	v_add_nc_u32_e32 v1, s2, v1
	s_or_b32 s3, s8, exec_lo
	v_lshlrev_b64 v[0:1], 3, v[1:2]
	v_add_co_u32 v5, vcc_lo, v7, v0
	v_add_co_ci_u32_e32 v6, vcc_lo, v8, v1, vcc_lo
	s_waitcnt lgkmcnt(0)
	global_store_dword v[5:6], v3, off
.LBB0_14:
	s_or_b32 exec_lo, exec_lo, s0
	s_andn2_b32 s0, s8, exec_lo
	s_and_b32 s2, s3, exec_lo
	s_or_b32 s8, s0, s2
.LBB0_15:
	s_or_b32 exec_lo, exec_lo, s1
.LBB0_16:
	s_and_saveexec_b32 s0, s8
	s_cbranch_execnz .LBB0_18
; %bb.17:
	s_endpgm
.LBB0_18:
	global_store_dword v[5:6], v4, off offset:4
	s_endpgm
	.section	.rodata,"a",@progbits
	.p2align	6, 0x0
	.amdhsa_kernel fft_rtc_back_len289_factors_17_17_wgs_119_tpt_17_sp_op_CI_CI_sbrc_erc_z_xy_unaligned_dirReg
		.amdhsa_group_segment_fixed_size 0
		.amdhsa_private_segment_fixed_size 0
		.amdhsa_kernarg_size 104
		.amdhsa_user_sgpr_count 6
		.amdhsa_user_sgpr_private_segment_buffer 1
		.amdhsa_user_sgpr_dispatch_ptr 0
		.amdhsa_user_sgpr_queue_ptr 0
		.amdhsa_user_sgpr_kernarg_segment_ptr 1
		.amdhsa_user_sgpr_dispatch_id 0
		.amdhsa_user_sgpr_flat_scratch_init 0
		.amdhsa_user_sgpr_private_segment_size 0
		.amdhsa_wavefront_size32 1
		.amdhsa_uses_dynamic_stack 0
		.amdhsa_system_sgpr_private_segment_wavefront_offset 0
		.amdhsa_system_sgpr_workgroup_id_x 1
		.amdhsa_system_sgpr_workgroup_id_y 0
		.amdhsa_system_sgpr_workgroup_id_z 0
		.amdhsa_system_sgpr_workgroup_info 0
		.amdhsa_system_vgpr_workitem_id 0
		.amdhsa_next_free_vgpr 77
		.amdhsa_next_free_sgpr 25
		.amdhsa_reserve_vcc 1
		.amdhsa_reserve_flat_scratch 0
		.amdhsa_float_round_mode_32 0
		.amdhsa_float_round_mode_16_64 0
		.amdhsa_float_denorm_mode_32 3
		.amdhsa_float_denorm_mode_16_64 3
		.amdhsa_dx10_clamp 1
		.amdhsa_ieee_mode 1
		.amdhsa_fp16_overflow 0
		.amdhsa_workgroup_processor_mode 1
		.amdhsa_memory_ordered 1
		.amdhsa_forward_progress 0
		.amdhsa_shared_vgpr_count 0
		.amdhsa_exception_fp_ieee_invalid_op 0
		.amdhsa_exception_fp_denorm_src 0
		.amdhsa_exception_fp_ieee_div_zero 0
		.amdhsa_exception_fp_ieee_overflow 0
		.amdhsa_exception_fp_ieee_underflow 0
		.amdhsa_exception_fp_ieee_inexact 0
		.amdhsa_exception_int_div_zero 0
	.end_amdhsa_kernel
	.text
.Lfunc_end0:
	.size	fft_rtc_back_len289_factors_17_17_wgs_119_tpt_17_sp_op_CI_CI_sbrc_erc_z_xy_unaligned_dirReg, .Lfunc_end0-fft_rtc_back_len289_factors_17_17_wgs_119_tpt_17_sp_op_CI_CI_sbrc_erc_z_xy_unaligned_dirReg
                                        ; -- End function
	.section	.AMDGPU.csdata,"",@progbits
; Kernel info:
; codeLenInByte = 15256
; NumSgprs: 27
; NumVgprs: 77
; ScratchSize: 0
; MemoryBound: 0
; FloatMode: 240
; IeeeMode: 1
; LDSByteSize: 0 bytes/workgroup (compile time only)
; SGPRBlocks: 3
; VGPRBlocks: 9
; NumSGPRsForWavesPerEU: 27
; NumVGPRsForWavesPerEU: 77
; Occupancy: 12
; WaveLimiterHint : 1
; COMPUTE_PGM_RSRC2:SCRATCH_EN: 0
; COMPUTE_PGM_RSRC2:USER_SGPR: 6
; COMPUTE_PGM_RSRC2:TRAP_HANDLER: 0
; COMPUTE_PGM_RSRC2:TGID_X_EN: 1
; COMPUTE_PGM_RSRC2:TGID_Y_EN: 0
; COMPUTE_PGM_RSRC2:TGID_Z_EN: 0
; COMPUTE_PGM_RSRC2:TIDIG_COMP_CNT: 0
	.text
	.p2alignl 6, 3214868480
	.fill 48, 4, 3214868480
	.type	__hip_cuid_86663e83b4cbd80,@object ; @__hip_cuid_86663e83b4cbd80
	.section	.bss,"aw",@nobits
	.globl	__hip_cuid_86663e83b4cbd80
__hip_cuid_86663e83b4cbd80:
	.byte	0                               ; 0x0
	.size	__hip_cuid_86663e83b4cbd80, 1

	.ident	"AMD clang version 19.0.0git (https://github.com/RadeonOpenCompute/llvm-project roc-6.4.0 25133 c7fe45cf4b819c5991fe208aaa96edf142730f1d)"
	.section	".note.GNU-stack","",@progbits
	.addrsig
	.addrsig_sym __hip_cuid_86663e83b4cbd80
	.amdgpu_metadata
---
amdhsa.kernels:
  - .args:
      - .actual_access:  read_only
        .address_space:  global
        .offset:         0
        .size:           8
        .value_kind:     global_buffer
      - .offset:         8
        .size:           8
        .value_kind:     by_value
      - .actual_access:  read_only
        .address_space:  global
        .offset:         16
        .size:           8
        .value_kind:     global_buffer
      - .actual_access:  read_only
        .address_space:  global
        .offset:         24
        .size:           8
        .value_kind:     global_buffer
      - .actual_access:  read_only
        .address_space:  global
        .offset:         32
        .size:           8
        .value_kind:     global_buffer
      - .offset:         40
        .size:           8
        .value_kind:     by_value
      - .actual_access:  read_only
        .address_space:  global
        .offset:         48
        .size:           8
        .value_kind:     global_buffer
      - .actual_access:  read_only
        .address_space:  global
        .offset:         56
        .size:           8
        .value_kind:     global_buffer
      - .offset:         64
        .size:           4
        .value_kind:     by_value
      - .actual_access:  read_only
        .address_space:  global
        .offset:         72
        .size:           8
        .value_kind:     global_buffer
      - .actual_access:  read_only
        .address_space:  global
        .offset:         80
        .size:           8
        .value_kind:     global_buffer
      - .actual_access:  read_only
        .address_space:  global
        .offset:         88
        .size:           8
        .value_kind:     global_buffer
      - .actual_access:  write_only
        .address_space:  global
        .offset:         96
        .size:           8
        .value_kind:     global_buffer
    .group_segment_fixed_size: 0
    .kernarg_segment_align: 8
    .kernarg_segment_size: 104
    .language:       OpenCL C
    .language_version:
      - 2
      - 0
    .max_flat_workgroup_size: 119
    .name:           fft_rtc_back_len289_factors_17_17_wgs_119_tpt_17_sp_op_CI_CI_sbrc_erc_z_xy_unaligned_dirReg
    .private_segment_fixed_size: 0
    .sgpr_count:     27
    .sgpr_spill_count: 0
    .symbol:         fft_rtc_back_len289_factors_17_17_wgs_119_tpt_17_sp_op_CI_CI_sbrc_erc_z_xy_unaligned_dirReg.kd
    .uniform_work_group_size: 1
    .uses_dynamic_stack: false
    .vgpr_count:     77
    .vgpr_spill_count: 0
    .wavefront_size: 32
    .workgroup_processor_mode: 1
amdhsa.target:   amdgcn-amd-amdhsa--gfx1030
amdhsa.version:
  - 1
  - 2
...

	.end_amdgpu_metadata
